;; amdgpu-corpus repo=ROCm/rocFFT kind=compiled arch=gfx906 opt=O3
	.text
	.amdgcn_target "amdgcn-amd-amdhsa--gfx906"
	.amdhsa_code_object_version 6
	.protected	fft_rtc_fwd_len1632_factors_17_2_2_3_8_wgs_102_tpt_102_halfLds_sp_op_CI_CI_unitstride_sbrr_R2C_dirReg ; -- Begin function fft_rtc_fwd_len1632_factors_17_2_2_3_8_wgs_102_tpt_102_halfLds_sp_op_CI_CI_unitstride_sbrr_R2C_dirReg
	.globl	fft_rtc_fwd_len1632_factors_17_2_2_3_8_wgs_102_tpt_102_halfLds_sp_op_CI_CI_unitstride_sbrr_R2C_dirReg
	.p2align	8
	.type	fft_rtc_fwd_len1632_factors_17_2_2_3_8_wgs_102_tpt_102_halfLds_sp_op_CI_CI_unitstride_sbrr_R2C_dirReg,@function
fft_rtc_fwd_len1632_factors_17_2_2_3_8_wgs_102_tpt_102_halfLds_sp_op_CI_CI_unitstride_sbrr_R2C_dirReg: ; @fft_rtc_fwd_len1632_factors_17_2_2_3_8_wgs_102_tpt_102_halfLds_sp_op_CI_CI_unitstride_sbrr_R2C_dirReg
; %bb.0:
	s_load_dwordx4 s[8:11], s[4:5], 0x58
	s_load_dwordx4 s[12:15], s[4:5], 0x0
	;; [unrolled: 1-line block ×3, first 2 shown]
	v_mul_u32_u24_e32 v1, 0x283, v0
	v_add_u32_sdwa v5, s6, v1 dst_sel:DWORD dst_unused:UNUSED_PAD src0_sel:DWORD src1_sel:WORD_1
	v_mov_b32_e32 v3, 0
	s_waitcnt lgkmcnt(0)
	v_cmp_lt_u64_e64 s[0:1], s[14:15], 2
	v_mov_b32_e32 v1, 0
	v_mov_b32_e32 v6, v3
	s_and_b64 vcc, exec, s[0:1]
	v_mov_b32_e32 v2, 0
	s_cbranch_vccnz .LBB0_8
; %bb.1:
	s_load_dwordx2 s[0:1], s[4:5], 0x10
	s_add_u32 s2, s18, 8
	s_addc_u32 s3, s19, 0
	s_add_u32 s6, s16, 8
	v_mov_b32_e32 v1, 0
	s_addc_u32 s7, s17, 0
	v_mov_b32_e32 v2, 0
	s_waitcnt lgkmcnt(0)
	s_add_u32 s20, s0, 8
	v_mov_b32_e32 v33, v2
	s_addc_u32 s21, s1, 0
	s_mov_b64 s[22:23], 1
	v_mov_b32_e32 v32, v1
.LBB0_2:                                ; =>This Inner Loop Header: Depth=1
	s_load_dwordx2 s[24:25], s[20:21], 0x0
                                        ; implicit-def: $vgpr36_vgpr37
	s_waitcnt lgkmcnt(0)
	v_or_b32_e32 v4, s25, v6
	v_cmp_ne_u64_e32 vcc, 0, v[3:4]
	s_and_saveexec_b64 s[0:1], vcc
	s_xor_b64 s[26:27], exec, s[0:1]
	s_cbranch_execz .LBB0_4
; %bb.3:                                ;   in Loop: Header=BB0_2 Depth=1
	v_cvt_f32_u32_e32 v4, s24
	v_cvt_f32_u32_e32 v7, s25
	s_sub_u32 s0, 0, s24
	s_subb_u32 s1, 0, s25
	v_mac_f32_e32 v4, 0x4f800000, v7
	v_rcp_f32_e32 v4, v4
	v_mul_f32_e32 v4, 0x5f7ffffc, v4
	v_mul_f32_e32 v7, 0x2f800000, v4
	v_trunc_f32_e32 v7, v7
	v_mac_f32_e32 v4, 0xcf800000, v7
	v_cvt_u32_f32_e32 v7, v7
	v_cvt_u32_f32_e32 v4, v4
	v_mul_lo_u32 v8, s0, v7
	v_mul_hi_u32 v9, s0, v4
	v_mul_lo_u32 v11, s1, v4
	v_mul_lo_u32 v10, s0, v4
	v_add_u32_e32 v8, v9, v8
	v_add_u32_e32 v8, v8, v11
	v_mul_hi_u32 v9, v4, v10
	v_mul_lo_u32 v11, v4, v8
	v_mul_hi_u32 v13, v4, v8
	v_mul_hi_u32 v12, v7, v10
	v_mul_lo_u32 v10, v7, v10
	v_mul_hi_u32 v14, v7, v8
	v_add_co_u32_e32 v9, vcc, v9, v11
	v_addc_co_u32_e32 v11, vcc, 0, v13, vcc
	v_mul_lo_u32 v8, v7, v8
	v_add_co_u32_e32 v9, vcc, v9, v10
	v_addc_co_u32_e32 v9, vcc, v11, v12, vcc
	v_addc_co_u32_e32 v10, vcc, 0, v14, vcc
	v_add_co_u32_e32 v8, vcc, v9, v8
	v_addc_co_u32_e32 v9, vcc, 0, v10, vcc
	v_add_co_u32_e32 v4, vcc, v4, v8
	v_addc_co_u32_e32 v7, vcc, v7, v9, vcc
	v_mul_lo_u32 v8, s0, v7
	v_mul_hi_u32 v9, s0, v4
	v_mul_lo_u32 v10, s1, v4
	v_mul_lo_u32 v11, s0, v4
	v_add_u32_e32 v8, v9, v8
	v_add_u32_e32 v8, v8, v10
	v_mul_lo_u32 v12, v4, v8
	v_mul_hi_u32 v13, v4, v11
	v_mul_hi_u32 v14, v4, v8
	v_mul_hi_u32 v10, v7, v11
	v_mul_lo_u32 v11, v7, v11
	v_mul_hi_u32 v9, v7, v8
	v_add_co_u32_e32 v12, vcc, v13, v12
	v_addc_co_u32_e32 v13, vcc, 0, v14, vcc
	v_mul_lo_u32 v8, v7, v8
	v_add_co_u32_e32 v11, vcc, v12, v11
	v_addc_co_u32_e32 v10, vcc, v13, v10, vcc
	v_addc_co_u32_e32 v9, vcc, 0, v9, vcc
	v_add_co_u32_e32 v8, vcc, v10, v8
	v_addc_co_u32_e32 v9, vcc, 0, v9, vcc
	v_add_co_u32_e32 v4, vcc, v4, v8
	v_addc_co_u32_e32 v9, vcc, v7, v9, vcc
	v_mad_u64_u32 v[7:8], s[0:1], v5, v9, 0
	v_mul_hi_u32 v10, v5, v4
	v_add_co_u32_e32 v11, vcc, v10, v7
	v_addc_co_u32_e32 v12, vcc, 0, v8, vcc
	v_mad_u64_u32 v[7:8], s[0:1], v6, v4, 0
	v_mad_u64_u32 v[9:10], s[0:1], v6, v9, 0
	v_add_co_u32_e32 v4, vcc, v11, v7
	v_addc_co_u32_e32 v4, vcc, v12, v8, vcc
	v_addc_co_u32_e32 v7, vcc, 0, v10, vcc
	v_add_co_u32_e32 v4, vcc, v4, v9
	v_addc_co_u32_e32 v9, vcc, 0, v7, vcc
	v_mul_lo_u32 v10, s25, v4
	v_mul_lo_u32 v11, s24, v9
	v_mad_u64_u32 v[7:8], s[0:1], s24, v4, 0
	v_add3_u32 v8, v8, v11, v10
	v_sub_u32_e32 v10, v6, v8
	v_mov_b32_e32 v11, s25
	v_sub_co_u32_e32 v7, vcc, v5, v7
	v_subb_co_u32_e64 v10, s[0:1], v10, v11, vcc
	v_subrev_co_u32_e64 v11, s[0:1], s24, v7
	v_subbrev_co_u32_e64 v10, s[0:1], 0, v10, s[0:1]
	v_cmp_le_u32_e64 s[0:1], s25, v10
	v_cndmask_b32_e64 v12, 0, -1, s[0:1]
	v_cmp_le_u32_e64 s[0:1], s24, v11
	v_cndmask_b32_e64 v11, 0, -1, s[0:1]
	v_cmp_eq_u32_e64 s[0:1], s25, v10
	v_cndmask_b32_e64 v10, v12, v11, s[0:1]
	v_add_co_u32_e64 v11, s[0:1], 2, v4
	v_addc_co_u32_e64 v12, s[0:1], 0, v9, s[0:1]
	v_add_co_u32_e64 v13, s[0:1], 1, v4
	v_addc_co_u32_e64 v14, s[0:1], 0, v9, s[0:1]
	v_subb_co_u32_e32 v8, vcc, v6, v8, vcc
	v_cmp_ne_u32_e64 s[0:1], 0, v10
	v_cmp_le_u32_e32 vcc, s25, v8
	v_cndmask_b32_e64 v10, v14, v12, s[0:1]
	v_cndmask_b32_e64 v12, 0, -1, vcc
	v_cmp_le_u32_e32 vcc, s24, v7
	v_cndmask_b32_e64 v7, 0, -1, vcc
	v_cmp_eq_u32_e32 vcc, s25, v8
	v_cndmask_b32_e32 v7, v12, v7, vcc
	v_cmp_ne_u32_e32 vcc, 0, v7
	v_cndmask_b32_e64 v7, v13, v11, s[0:1]
	v_cndmask_b32_e32 v37, v9, v10, vcc
	v_cndmask_b32_e32 v36, v4, v7, vcc
.LBB0_4:                                ;   in Loop: Header=BB0_2 Depth=1
	s_andn2_saveexec_b64 s[0:1], s[26:27]
	s_cbranch_execz .LBB0_6
; %bb.5:                                ;   in Loop: Header=BB0_2 Depth=1
	v_cvt_f32_u32_e32 v4, s24
	s_sub_i32 s26, 0, s24
	v_mov_b32_e32 v37, v3
	v_rcp_iflag_f32_e32 v4, v4
	v_mul_f32_e32 v4, 0x4f7ffffe, v4
	v_cvt_u32_f32_e32 v4, v4
	v_mul_lo_u32 v7, s26, v4
	v_mul_hi_u32 v7, v4, v7
	v_add_u32_e32 v4, v4, v7
	v_mul_hi_u32 v4, v5, v4
	v_mul_lo_u32 v7, v4, s24
	v_add_u32_e32 v8, 1, v4
	v_sub_u32_e32 v7, v5, v7
	v_subrev_u32_e32 v9, s24, v7
	v_cmp_le_u32_e32 vcc, s24, v7
	v_cndmask_b32_e32 v7, v7, v9, vcc
	v_cndmask_b32_e32 v4, v4, v8, vcc
	v_add_u32_e32 v8, 1, v4
	v_cmp_le_u32_e32 vcc, s24, v7
	v_cndmask_b32_e32 v36, v4, v8, vcc
.LBB0_6:                                ;   in Loop: Header=BB0_2 Depth=1
	s_or_b64 exec, exec, s[0:1]
	v_mul_lo_u32 v4, v37, s24
	v_mul_lo_u32 v9, v36, s25
	v_mad_u64_u32 v[7:8], s[0:1], v36, s24, 0
	s_load_dwordx2 s[0:1], s[6:7], 0x0
	s_load_dwordx2 s[24:25], s[2:3], 0x0
	v_add3_u32 v4, v8, v9, v4
	v_sub_co_u32_e32 v5, vcc, v5, v7
	v_subb_co_u32_e32 v4, vcc, v6, v4, vcc
	s_waitcnt lgkmcnt(0)
	v_mul_lo_u32 v6, s0, v4
	v_mul_lo_u32 v7, s1, v5
	v_mad_u64_u32 v[1:2], s[0:1], s0, v5, v[1:2]
	v_mul_lo_u32 v4, s24, v4
	v_mul_lo_u32 v8, s25, v5
	v_mad_u64_u32 v[32:33], s[0:1], s24, v5, v[32:33]
	s_add_u32 s22, s22, 1
	s_addc_u32 s23, s23, 0
	s_add_u32 s2, s2, 8
	v_add3_u32 v33, v8, v33, v4
	s_addc_u32 s3, s3, 0
	v_mov_b32_e32 v4, s14
	s_add_u32 s6, s6, 8
	v_mov_b32_e32 v5, s15
	s_addc_u32 s7, s7, 0
	v_cmp_ge_u64_e32 vcc, s[22:23], v[4:5]
	s_add_u32 s20, s20, 8
	v_add3_u32 v2, v7, v2, v6
	s_addc_u32 s21, s21, 0
	s_cbranch_vccnz .LBB0_9
; %bb.7:                                ;   in Loop: Header=BB0_2 Depth=1
	v_mov_b32_e32 v5, v36
	v_mov_b32_e32 v6, v37
	s_branch .LBB0_2
.LBB0_8:
	v_mov_b32_e32 v33, v2
	v_mov_b32_e32 v37, v6
	;; [unrolled: 1-line block ×4, first 2 shown]
.LBB0_9:
	s_load_dwordx2 s[4:5], s[4:5], 0x28
	s_lshl_b64 s[6:7], s[14:15], 3
	s_add_u32 s2, s18, s6
	s_addc_u32 s3, s19, s7
                                        ; implicit-def: $vgpr34
	s_waitcnt lgkmcnt(0)
	v_cmp_gt_u64_e64 s[0:1], s[4:5], v[36:37]
	v_cmp_le_u64_e32 vcc, s[4:5], v[36:37]
	s_and_saveexec_b64 s[4:5], vcc
	s_xor_b64 s[4:5], exec, s[4:5]
; %bb.10:
	s_mov_b32 s14, 0x2828283
	v_mul_hi_u32 v1, v0, s14
	v_mul_u32_u24_e32 v1, 0x66, v1
	v_sub_u32_e32 v34, v0, v1
                                        ; implicit-def: $vgpr0
                                        ; implicit-def: $vgpr1_vgpr2
; %bb.11:
	s_andn2_saveexec_b64 s[4:5], s[4:5]
	s_cbranch_execz .LBB0_13
; %bb.12:
	s_add_u32 s6, s16, s6
	s_addc_u32 s7, s17, s7
	s_load_dwordx2 s[6:7], s[6:7], 0x0
	s_mov_b32 s14, 0x2828283
	v_mul_hi_u32 v5, v0, s14
	s_waitcnt lgkmcnt(0)
	v_mul_lo_u32 v6, s7, v36
	v_mul_lo_u32 v7, s6, v37
	v_mad_u64_u32 v[3:4], s[6:7], s6, v36, 0
	v_mul_u32_u24_e32 v5, 0x66, v5
	v_sub_u32_e32 v34, v0, v5
	v_add3_u32 v4, v4, v7, v6
	v_lshlrev_b64 v[3:4], 3, v[3:4]
	v_mov_b32_e32 v0, s9
	v_add_co_u32_e32 v3, vcc, s8, v3
	v_addc_co_u32_e32 v4, vcc, v0, v4, vcc
	v_lshlrev_b64 v[0:1], 3, v[1:2]
	v_lshlrev_b32_e32 v35, 3, v34
	v_add_co_u32_e32 v0, vcc, v3, v0
	v_addc_co_u32_e32 v1, vcc, v4, v1, vcc
	v_add_co_u32_e32 v0, vcc, v0, v35
	v_addc_co_u32_e32 v1, vcc, 0, v1, vcc
	s_movk_i32 s6, 0x1000
	v_add_co_u32_e32 v4, vcc, s6, v0
	v_addc_co_u32_e32 v5, vcc, 0, v1, vcc
	global_load_dwordx2 v[2:3], v[0:1], off offset:2448
	global_load_dwordx2 v[6:7], v[0:1], off offset:3264
	;; [unrolled: 1-line block ×5, first 2 shown]
	global_load_dwordx2 v[14:15], v[0:1], off
	global_load_dwordx2 v[16:17], v[0:1], off offset:1632
	global_load_dwordx2 v[18:19], v[0:1], off offset:816
	v_add_co_u32_e32 v0, vcc, 0x2000, v0
	v_addc_co_u32_e32 v1, vcc, 0, v1, vcc
	global_load_dwordx2 v[20:21], v[4:5], off offset:2432
	global_load_dwordx2 v[22:23], v[4:5], off offset:3248
	;; [unrolled: 1-line block ×8, first 2 shown]
	v_add_u32_e32 v0, 0, v35
	v_add_u32_e32 v1, 0x400, v0
	;; [unrolled: 1-line block ×8, first 2 shown]
	s_waitcnt vmcnt(9)
	ds_write2_b64 v1, v[16:17], v[2:3] offset0:76 offset1:178
	ds_write2_b64 v4, v[6:7], v[8:9] offset0:152 offset1:254
	s_waitcnt vmcnt(8)
	ds_write2_b64 v0, v[14:15], v[18:19] offset1:102
	ds_write2_b64 v5, v[10:11], v[12:13] offset0:100 offset1:202
	s_waitcnt vmcnt(6)
	ds_write2_b64 v35, v[20:21], v[22:23] offset0:48 offset1:150
	s_waitcnt vmcnt(4)
	;; [unrolled: 2-line block ×4, first 2 shown]
	ds_write2_b64 v44, v[38:39], v[40:41] offset0:148 offset1:250
.LBB0_13:
	s_or_b64 exec, exec, s[4:5]
	v_lshl_add_u32 v52, v34, 3, 0
	s_waitcnt lgkmcnt(0)
	s_barrier
	ds_read2_b64 v[0:3], v52 offset1:96
	ds_read_b64 v[40:41], v52 offset:12288
	v_add_u32_e32 v53, 0x400, v52
	v_add_u32_e32 v35, 0x2800, v52
	ds_read2_b64 v[8:11], v53 offset0:64 offset1:160
	ds_read2_b64 v[4:7], v35 offset0:64 offset1:160
	s_waitcnt lgkmcnt(2)
	v_sub_f32_e32 v80, v3, v41
	v_mul_f32_e32 v67, 0xbeb8f4ab, v80
	v_add_f32_e32 v59, v40, v2
	v_mov_b32_e32 v12, v67
	s_waitcnt lgkmcnt(0)
	v_sub_f32_e32 v82, v9, v7
	v_mul_f32_e32 v69, 0xbf2c7751, v82
	v_fmac_f32_e32 v12, 0x3f6eb680, v59
	v_add_f32_e32 v60, v6, v8
	v_mov_b32_e32 v13, v69
	v_sub_f32_e32 v91, v2, v40
	v_add_f32_e32 v61, v41, v3
	v_add_f32_e32 v12, v0, v12
	v_fmac_f32_e32 v13, 0x3f3d2fb0, v60
	s_mov_b32 s6, 0x3f6eb680
	v_mul_f32_e32 v77, 0xbeb8f4ab, v91
	v_sub_f32_e32 v92, v8, v6
	v_add_f32_e32 v12, v13, v12
	v_fma_f32 v13, v61, s6, -v77
	s_mov_b32 s7, 0x3f3d2fb0
	v_add_f32_e32 v63, v7, v9
	v_mul_f32_e32 v78, 0xbf2c7751, v92
	v_sub_f32_e32 v86, v11, v5
	v_add_f32_e32 v13, v1, v13
	v_fma_f32 v14, v63, s7, -v78
	v_mul_f32_e32 v73, 0xbf65296c, v86
	v_add_f32_e32 v20, v14, v13
	v_add_f32_e32 v62, v4, v10
	v_mov_b32_e32 v13, v73
	v_fmac_f32_e32 v13, 0x3ee437d1, v62
	v_add_u32_e32 v57, 0x800, v52
	v_add_f32_e32 v21, v13, v12
	v_add_u32_e32 v54, 0x2000, v52
	ds_read2_b64 v[16:19], v57 offset0:128 offset1:224
	ds_read2_b64 v[12:15], v54 offset0:128 offset1:224
	v_sub_f32_e32 v96, v10, v4
	s_mov_b32 s8, 0x3ee437d1
	v_add_f32_e32 v65, v5, v11
	v_mul_f32_e32 v83, 0xbf65296c, v96
	s_waitcnt lgkmcnt(0)
	v_sub_f32_e32 v90, v17, v15
	v_fma_f32 v22, v65, s8, -v83
	v_mul_f32_e32 v76, 0xbf7ee86f, v90
	v_add_f32_e32 v20, v22, v20
	v_add_f32_e32 v64, v14, v16
	v_mov_b32_e32 v22, v76
	v_sub_f32_e32 v99, v16, v14
	v_fmac_f32_e32 v22, 0x3dbcf732, v64
	s_mov_b32 s9, 0x3dbcf732
	v_add_f32_e32 v68, v15, v17
	v_mul_f32_e32 v85, 0xbf7ee86f, v99
	v_sub_f32_e32 v94, v19, v13
	v_add_f32_e32 v21, v22, v21
	v_fma_f32 v22, v68, s9, -v85
	v_mul_f32_e32 v81, 0xbf763a35, v94
	v_add_f32_e32 v28, v22, v20
	v_add_f32_e32 v66, v12, v18
	v_mov_b32_e32 v20, v81
	v_fmac_f32_e32 v20, 0xbe8c1d8e, v66
	v_add_u32_e32 v55, 0x1000, v52
	v_add_f32_e32 v29, v20, v21
	v_add_u32_e32 v58, 0x1c00, v52
	ds_read2_b64 v[24:27], v55 offset0:64 offset1:160
	ds_read2_b64 v[20:23], v58 offset0:64 offset1:160
	v_sub_f32_e32 v102, v18, v12
	s_mov_b32 s14, 0xbe8c1d8e
	v_add_f32_e32 v71, v13, v19
	v_mul_f32_e32 v89, 0xbf763a35, v102
	s_waitcnt lgkmcnt(0)
	v_sub_f32_e32 v98, v25, v23
	v_fma_f32 v30, v71, s14, -v89
	v_mul_f32_e32 v87, 0xbf4c4adb, v98
	v_add_f32_e32 v28, v30, v28
	v_add_f32_e32 v70, v22, v24
	v_mov_b32_e32 v30, v87
	v_sub_f32_e32 v104, v24, v22
	v_fmac_f32_e32 v30, 0xbf1a4643, v70
	s_mov_b32 s15, 0xbf1a4643
	v_add_f32_e32 v74, v23, v25
	v_mul_f32_e32 v93, 0xbf4c4adb, v104
	v_sub_f32_e32 v101, v27, v21
	v_add_f32_e32 v29, v30, v29
	v_fma_f32 v30, v74, s15, -v93
	v_mul_f32_e32 v88, 0xbf06c442, v101
	v_add_f32_e32 v38, v30, v28
	v_add_f32_e32 v72, v20, v26
	v_mov_b32_e32 v28, v88
	v_fmac_f32_e32 v28, 0xbf59a7d5, v72
	v_add_u32_e32 v56, 0x1800, v52
	v_add_f32_e32 v39, v28, v29
	ds_read2_b64 v[28:31], v56 offset1:96
	v_sub_f32_e32 v105, v26, v20
	s_mov_b32 s16, 0xbf59a7d5
	v_add_f32_e32 v79, v21, v27
	v_mul_f32_e32 v97, 0xbf06c442, v105
	s_waitcnt lgkmcnt(0)
	v_sub_f32_e32 v103, v29, v31
	v_fma_f32 v42, v79, s16, -v97
	v_mul_f32_e32 v95, 0xbe3c28d5, v103
	v_add_f32_e32 v42, v42, v38
	v_add_f32_e32 v75, v30, v28
	v_mov_b32_e32 v38, v95
	v_sub_f32_e32 v106, v28, v30
	s_mov_b32 s17, 0xbf7ba420
	v_fmac_f32_e32 v38, 0xbf7ba420, v75
	v_add_f32_e32 v84, v31, v29
	v_mul_f32_e32 v100, 0xbe3c28d5, v106
	v_add_f32_e32 v38, v38, v39
	v_fma_f32 v39, v84, s17, -v100
	s_movk_i32 s4, 0x60
	v_add_f32_e32 v39, v39, v42
	v_cmp_gt_u32_e32 vcc, s4, v34
	s_barrier
	s_and_saveexec_b64 s[4:5], vcc
	s_cbranch_execz .LBB0_15
; %bb.14:
	v_mul_f32_e32 v108, 0x3ee437d1, v61
	v_mov_b32_e32 v42, v108
	v_mul_f32_e32 v109, 0xbf1a4643, v63
	v_fmac_f32_e32 v42, 0x3f65296c, v91
	v_mov_b32_e32 v43, v109
	v_add_f32_e32 v42, v1, v42
	v_fmac_f32_e32 v43, 0x3f4c4adb, v92
	v_mul_f32_e32 v110, 0xbf7ba420, v65
	v_add_f32_e32 v42, v43, v42
	v_mov_b32_e32 v43, v110
	v_fmac_f32_e32 v43, 0xbe3c28d5, v96
	v_mul_f32_e32 v111, 0xbe8c1d8e, v68
	v_add_f32_e32 v42, v43, v42
	v_mov_b32_e32 v43, v111
	;; [unrolled: 4-line block ×7, first 2 shown]
	v_mul_f32_e32 v116, 0xbf4c4adb, v82
	v_fmac_f32_e32 v42, 0x3ee437d1, v59
	v_mov_b32_e32 v44, v116
	v_add_f32_e32 v42, v0, v42
	v_fmac_f32_e32 v44, 0xbf1a4643, v60
	v_mul_f32_e32 v118, 0x3e3c28d5, v86
	v_add_f32_e32 v42, v44, v42
	v_mov_b32_e32 v44, v118
	v_fmac_f32_e32 v44, 0xbf7ba420, v62
	v_mul_f32_e32 v119, 0x3f763a35, v90
	v_add_f32_e32 v42, v44, v42
	v_mov_b32_e32 v44, v119
	v_fmac_f32_e32 v44, 0xbe8c1d8e, v64
	v_mul_f32_e32 v120, 0x3f2c7751, v94
	v_add_f32_e32 v42, v44, v42
	v_mov_b32_e32 v44, v120
	v_fmac_f32_e32 v44, 0x3f3d2fb0, v66
	v_mul_f32_e32 v117, 0xbeb8f4ab, v98
	v_add_f32_e32 v42, v44, v42
	v_mov_b32_e32 v44, v117
	v_fmac_f32_e32 v44, 0x3f6eb680, v70
	v_mul_f32_e32 v121, 0xbf7ee86f, v101
	v_add_f32_e32 v42, v44, v42
	v_mov_b32_e32 v44, v121
	v_fmac_f32_e32 v44, 0x3dbcf732, v72
	v_mul_f32_e32 v122, 0xbf06c442, v103
	v_add_f32_e32 v42, v44, v42
	v_mov_b32_e32 v44, v122
	v_fmac_f32_e32 v44, 0xbf59a7d5, v75
	v_mul_f32_e32 v133, 0x3dbcf732, v61
	v_add_f32_e32 v42, v44, v42
	v_mov_b32_e32 v44, v133
	v_mul_f32_e32 v134, 0xbf7ba420, v63
	v_fmac_f32_e32 v44, 0x3f7ee86f, v91
	v_mov_b32_e32 v45, v134
	v_add_f32_e32 v44, v1, v44
	v_fmac_f32_e32 v45, 0x3e3c28d5, v92
	v_mul_f32_e32 v135, 0xbe8c1d8e, v65
	v_add_f32_e32 v44, v45, v44
	v_mov_b32_e32 v45, v135
	v_fmac_f32_e32 v45, 0xbf763a35, v96
	v_mul_f32_e32 v136, 0x3f6eb680, v68
	v_add_f32_e32 v44, v45, v44
	v_mov_b32_e32 v45, v136
	v_fmac_f32_e32 v45, 0xbeb8f4ab, v99
	v_mul_f32_e32 v137, 0x3ee437d1, v71
	v_add_f32_e32 v44, v45, v44
	v_mov_b32_e32 v45, v137
	v_fmac_f32_e32 v45, 0x3f65296c, v102
	v_mul_f32_e32 v138, 0xbf59a7d5, v74
	v_add_f32_e32 v44, v45, v44
	v_mov_b32_e32 v45, v138
	v_fmac_f32_e32 v45, 0x3f06c442, v104
	v_mul_f32_e32 v139, 0xbf1a4643, v79
	v_add_f32_e32 v44, v45, v44
	v_mov_b32_e32 v45, v139
	v_fmac_f32_e32 v45, 0xbf4c4adb, v105
	v_mul_f32_e32 v140, 0xbf7ee86f, v80
	v_add_f32_e32 v44, v45, v44
	v_mov_b32_e32 v45, v140
	v_mul_f32_e32 v141, 0xbe3c28d5, v82
	v_fmac_f32_e32 v45, 0x3dbcf732, v59
	v_mov_b32_e32 v46, v141
	v_add_f32_e32 v45, v0, v45
	v_fmac_f32_e32 v46, 0xbf7ba420, v60
	v_mul_f32_e32 v142, 0x3f763a35, v86
	v_add_f32_e32 v45, v46, v45
	v_mov_b32_e32 v46, v142
	v_fmac_f32_e32 v46, 0xbe8c1d8e, v62
	v_mul_f32_e32 v143, 0x3eb8f4ab, v90
	v_add_f32_e32 v45, v46, v45
	v_mov_b32_e32 v46, v143
	v_fmac_f32_e32 v46, 0x3f6eb680, v64
	v_mul_f32_e32 v144, 0xbf65296c, v94
	v_add_f32_e32 v45, v46, v45
	v_mov_b32_e32 v46, v144
	v_fmac_f32_e32 v46, 0x3ee437d1, v66
	v_mul_f32_e32 v145, 0xbf06c442, v98
	v_add_f32_e32 v45, v46, v45
	v_mov_b32_e32 v46, v145
	v_fmac_f32_e32 v46, 0xbf59a7d5, v70
	v_mul_f32_e32 v146, 0x3f4c4adb, v101
	v_add_f32_e32 v45, v46, v45
	v_mov_b32_e32 v46, v146
	v_fmac_f32_e32 v46, 0xbf1a4643, v72
	v_mul_f32_e32 v147, 0x3f3d2fb0, v84
	v_add_f32_e32 v46, v46, v45
	v_mov_b32_e32 v45, v147
	v_fmac_f32_e32 v45, 0xbf2c7751, v106
	v_mul_f32_e32 v148, 0x3f2c7751, v103
	v_add_f32_e32 v45, v45, v44
	v_mov_b32_e32 v44, v148
	v_fmac_f32_e32 v44, 0x3f3d2fb0, v75
	v_mul_f32_e32 v131, 0xbe8c1d8e, v61
	v_add_f32_e32 v44, v44, v46
	v_mov_b32_e32 v46, v131
	v_mul_f32_e32 v132, 0xbf59a7d5, v63
	v_fmac_f32_e32 v46, 0x3f763a35, v91
	v_mov_b32_e32 v47, v132
	v_add_f32_e32 v46, v1, v46
	v_fmac_f32_e32 v47, 0xbf06c442, v92
	v_mul_f32_e32 v149, 0x3f3d2fb0, v65
	v_add_f32_e32 v46, v47, v46
	v_mov_b32_e32 v47, v149
	v_fmac_f32_e32 v47, 0xbf2c7751, v96
	v_mul_f32_e32 v150, 0x3ee437d1, v68
	v_add_f32_e32 v46, v47, v46
	v_mov_b32_e32 v47, v150
	v_fmac_f32_e32 v47, 0x3f65296c, v99
	v_mul_f32_e32 v151, 0xbf7ba420, v71
	v_add_f32_e32 v46, v47, v46
	v_mov_b32_e32 v47, v151
	v_fmac_f32_e32 v47, 0x3e3c28d5, v102
	v_mul_f32_e32 v152, 0x3dbcf732, v74
	v_add_f32_e32 v46, v47, v46
	v_mov_b32_e32 v47, v152
	v_fmac_f32_e32 v47, 0xbf7ee86f, v104
	v_mul_f32_e32 v153, 0x3f6eb680, v79
	v_add_f32_e32 v46, v47, v46
	v_mov_b32_e32 v47, v153
	v_fmac_f32_e32 v47, 0x3eb8f4ab, v105
	v_mul_f32_e32 v154, 0xbf763a35, v80
	v_add_f32_e32 v46, v47, v46
	v_mov_b32_e32 v47, v154
	v_mul_f32_e32 v155, 0x3f06c442, v82
	v_fmac_f32_e32 v47, 0xbe8c1d8e, v59
	v_mov_b32_e32 v48, v155
	v_add_f32_e32 v47, v0, v47
	v_fmac_f32_e32 v48, 0xbf59a7d5, v60
	v_mul_f32_e32 v156, 0x3f2c7751, v86
	v_add_f32_e32 v47, v48, v47
	v_mov_b32_e32 v48, v156
	;; [unrolled: 64-line block ×4, first 2 shown]
	v_fmac_f32_e32 v123, 0x3dbcf732, v62
	v_mul_f32_e32 v185, 0x3f4c4adb, v90
	v_add_f32_e32 v51, v123, v51
	v_mov_b32_e32 v123, v185
	v_fmac_f32_e32 v123, 0xbf1a4643, v64
	v_mul_f32_e32 v186, 0xbeb8f4ab, v94
	v_add_f32_e32 v51, v123, v51
	v_mov_b32_e32 v123, v186
	;; [unrolled: 4-line block ×7, first 2 shown]
	v_mul_f32_e32 v126, 0x3f6eb680, v63
	v_fmac_f32_e32 v123, 0x3e3c28d5, v91
	v_mov_b32_e32 v124, v126
	v_add_f32_e32 v123, v1, v123
	v_fmac_f32_e32 v124, 0xbeb8f4ab, v92
	v_mul_f32_e32 v191, 0xbf59a7d5, v65
	v_add_f32_e32 v123, v124, v123
	v_mov_b32_e32 v124, v191
	v_fmac_f32_e32 v124, 0x3f06c442, v96
	v_mul_f32_e32 v192, 0x3f3d2fb0, v68
	v_add_f32_e32 v123, v124, v123
	v_mov_b32_e32 v124, v192
	;; [unrolled: 4-line block ×3, first 2 shown]
	v_fmac_f32_e32 v124, 0x3f4c4adb, v102
	v_mul_f32_e32 v194, 0x3ee437d1, v74
	v_fmac_f32_e32 v108, 0xbf65296c, v91
	v_add_f32_e32 v123, v124, v123
	v_mov_b32_e32 v124, v194
	v_add_f32_e32 v108, v1, v108
	v_fmac_f32_e32 v109, 0xbf4c4adb, v92
	v_fmac_f32_e32 v124, 0xbf65296c, v104
	v_mul_f32_e32 v195, 0xbe8c1d8e, v79
	v_add_f32_e32 v108, v109, v108
	v_fmac_f32_e32 v110, 0x3e3c28d5, v96
	v_add_f32_e32 v123, v124, v123
	v_mov_b32_e32 v124, v195
	v_add_f32_e32 v108, v110, v108
	v_fmac_f32_e32 v111, 0x3f763a35, v99
	v_fma_f32 v109, v59, s8, -v115
	v_fmac_f32_e32 v124, 0x3f763a35, v105
	v_mul_f32_e32 v196, 0xbe3c28d5, v80
	v_add_f32_e32 v108, v111, v108
	v_fmac_f32_e32 v112, 0x3f2c7751, v102
	v_add_f32_e32 v109, v0, v109
	v_fma_f32 v110, v60, s15, -v116
	v_add_f32_e32 v123, v124, v123
	v_mov_b32_e32 v124, v196
	v_mul_f32_e32 v197, 0x3eb8f4ab, v82
	v_add_f32_e32 v108, v112, v108
	v_fmac_f32_e32 v113, 0xbeb8f4ab, v104
	v_add_f32_e32 v109, v110, v109
	v_fma_f32 v110, v62, s17, -v118
	v_fmac_f32_e32 v124, 0xbf7ba420, v59
	v_mov_b32_e32 v198, v197
	v_add_f32_e32 v108, v113, v108
	v_fmac_f32_e32 v114, 0xbf7ee86f, v105
	v_add_f32_e32 v109, v110, v109
	v_fma_f32 v110, v64, s14, -v119
	v_add_f32_e32 v124, v0, v124
	v_fmac_f32_e32 v198, 0x3f6eb680, v60
	v_add_f32_e32 v108, v114, v108
	v_add_f32_e32 v109, v110, v109
	v_fma_f32 v111, v66, s7, -v120
	v_fmac_f32_e32 v107, 0xbf06c442, v106
	v_add_f32_e32 v124, v198, v124
	v_mul_f32_e32 v198, 0xbf06c442, v86
	v_add_f32_e32 v109, v111, v109
	v_add_f32_e32 v108, v107, v108
	v_fma_f32 v107, v70, s6, -v117
	v_mov_b32_e32 v199, v198
	v_add_f32_e32 v107, v107, v109
	v_fma_f32 v109, v72, s9, -v121
	v_fmac_f32_e32 v199, 0xbf59a7d5, v62
	v_add_f32_e32 v107, v109, v107
	v_fma_f32 v109, v75, s16, -v122
	v_add_f32_e32 v124, v199, v124
	v_mul_f32_e32 v199, 0x3f2c7751, v90
	v_add_f32_e32 v107, v109, v107
	v_mul_f32_e32 v109, 0xbf2c7751, v91
	v_mov_b32_e32 v200, v199
	v_fmac_f32_e32 v125, 0xbe3c28d5, v91
	v_fmac_f32_e32 v126, 0x3eb8f4ab, v92
	;; [unrolled: 1-line block ×10, first 2 shown]
	v_mov_b32_e32 v91, v109
	v_mul_f32_e32 v92, 0xbf7ee86f, v92
	v_fmac_f32_e32 v200, 0x3f3d2fb0, v64
	v_fmac_f32_e32 v91, 0x3f3d2fb0, v61
	v_mov_b32_e32 v112, v92
	v_add_f32_e32 v124, v200, v124
	v_mul_f32_e32 v200, 0xbf4c4adb, v94
	v_fmac_f32_e32 v191, 0xbf06c442, v96
	v_fmac_f32_e32 v177, 0xbf7ee86f, v96
	;; [unrolled: 1-line block ×5, first 2 shown]
	v_add_f32_e32 v91, v1, v91
	v_fmac_f32_e32 v112, 0x3dbcf732, v63
	v_mul_f32_e32 v96, 0xbf4c4adb, v96
	v_mov_b32_e32 v201, v200
	v_add_f32_e32 v91, v112, v91
	v_mov_b32_e32 v112, v96
	v_fmac_f32_e32 v201, 0xbf1a4643, v66
	v_fmac_f32_e32 v192, 0x3f2c7751, v99
	;; [unrolled: 1-line block ×7, first 2 shown]
	v_mul_f32_e32 v99, 0xbe3c28d5, v99
	v_add_f32_e32 v124, v201, v124
	v_mul_f32_e32 v201, 0x3f65296c, v98
	v_add_f32_e32 v91, v112, v91
	v_mov_b32_e32 v112, v99
	v_mov_b32_e32 v202, v201
	v_fmac_f32_e32 v193, 0xbf4c4adb, v102
	v_fmac_f32_e32 v179, 0xbeb8f4ab, v102
	;; [unrolled: 1-line block ×6, first 2 shown]
	v_mul_f32_e32 v102, 0x3f06c442, v102
	v_fmac_f32_e32 v202, 0x3ee437d1, v70
	v_add_f32_e32 v91, v112, v91
	v_mov_b32_e32 v112, v102
	v_add_f32_e32 v124, v202, v124
	v_mul_f32_e32 v202, 0xbf763a35, v101
	v_fmac_f32_e32 v194, 0x3f65296c, v104
	v_fmac_f32_e32 v180, 0xbe3c28d5, v104
	v_fmac_f32_e32 v166, 0xbf2c7751, v104
	v_fmac_f32_e32 v152, 0x3f7ee86f, v104
	v_fmac_f32_e32 v138, 0xbf06c442, v104
	v_fmac_f32_e32 v112, 0xbf59a7d5, v71
	v_mul_f32_e32 v104, 0x3f763a35, v104
	v_mov_b32_e32 v203, v202
	v_add_f32_e32 v91, v112, v91
	v_mov_b32_e32 v112, v104
	v_fmac_f32_e32 v203, 0xbe8c1d8e, v72
	v_mul_f32_e32 v204, 0x3dbcf732, v84
	v_fmac_f32_e32 v195, 0xbf763a35, v105
	v_fmac_f32_e32 v181, 0x3f2c7751, v105
	;; [unrolled: 1-line block ×6, first 2 shown]
	v_mul_f32_e32 v105, 0x3f65296c, v105
	v_add_f32_e32 v203, v203, v124
	v_mov_b32_e32 v124, v204
	v_add_f32_e32 v91, v112, v91
	v_mov_b32_e32 v112, v105
	v_add_f32_e32 v2, v0, v2
	v_fmac_f32_e32 v124, 0xbf7ee86f, v106
	v_fmac_f32_e32 v204, 0x3f7ee86f, v106
	v_fmac_f32_e32 v189, 0xbf763a35, v106
	v_fmac_f32_e32 v175, 0x3f65296c, v106
	v_fmac_f32_e32 v161, 0xbf4c4adb, v106
	v_fmac_f32_e32 v147, 0x3f2c7751, v106
	v_fmac_f32_e32 v112, 0x3ee437d1, v79
	v_mul_f32_e32 v106, 0x3eb8f4ab, v106
	v_add_f32_e32 v2, v2, v8
	v_add_f32_e32 v91, v112, v91
	v_mov_b32_e32 v112, v106
	v_add_f32_e32 v2, v2, v10
	v_fmac_f32_e32 v112, 0x3f6eb680, v84
	v_mul_f32_e32 v80, 0xbf2c7751, v80
	v_add_f32_e32 v2, v2, v16
	v_add_f32_e32 v91, v112, v91
	v_fma_f32 v112, v59, s7, -v80
	v_mul_f32_e32 v82, 0xbf7ee86f, v82
	v_add_f32_e32 v2, v2, v18
	v_add_f32_e32 v112, v0, v112
	v_fma_f32 v113, v60, s9, -v82
	;; [unrolled: 4-line block ×3, first 2 shown]
	v_add_f32_e32 v3, v1, v3
	v_add_f32_e32 v2, v2, v26
	;; [unrolled: 1-line block ×3, first 2 shown]
	v_mul_f32_e32 v113, 0xbe3c28d5, v90
	v_add_f32_e32 v3, v3, v9
	v_add_f32_e32 v2, v2, v28
	v_fma_f32 v90, v64, s17, -v113
	v_mul_f32_e32 v94, 0x3f06c442, v94
	v_add_f32_e32 v3, v3, v11
	v_add_f32_e32 v2, v2, v30
	v_add_f32_e32 v90, v90, v112
	v_fma_f32 v112, v66, s16, -v94
	v_mul_f32_e32 v98, 0x3f763a35, v98
	v_add_f32_e32 v3, v3, v17
	;; [unrolled: 5-line block ×3, first 2 shown]
	v_add_f32_e32 v2, v2, v22
	v_mul_f32_e32 v205, 0x3f7ee86f, v103
	v_add_f32_e32 v90, v112, v90
	v_fma_f32 v112, v72, s8, -v101
	v_mul_f32_e32 v103, 0x3eb8f4ab, v103
	v_add_f32_e32 v3, v3, v25
	v_add_f32_e32 v2, v2, v12
	v_mul_f32_e32 v110, 0x3f6eb680, v59
	v_mul_f32_e32 v111, 0x3f6eb680, v61
	v_add_f32_e32 v90, v112, v90
	v_fma_f32 v112, v75, s6, -v103
	v_add_f32_e32 v3, v3, v27
	v_add_f32_e32 v2, v2, v14
	;; [unrolled: 1-line block ×8, first 2 shown]
	v_mul_f32_e32 v112, 0x3f3d2fb0, v60
	v_mul_f32_e32 v114, 0x3f3d2fb0, v63
	v_add_f32_e32 v77, v77, v111
	v_sub_f32_e32 v67, v110, v67
	v_add_f32_e32 v3, v3, v29
	v_add_f32_e32 v2, v2, v4
	v_fma_f32 v4, v61, s7, -v109
	v_add_f32_e32 v125, v126, v125
	v_fma_f32 v126, v59, s17, -v196
	;; [unrolled: 2-line block ×6, first 2 shown]
	v_mul_f32_e32 v111, 0x3ee437d1, v62
	v_add_f32_e32 v78, v78, v114
	v_mul_f32_e32 v114, 0x3ee437d1, v65
	v_add_f32_e32 v77, v1, v77
	v_add_f32_e32 v67, v0, v67
	v_sub_f32_e32 v69, v112, v69
	v_add_f32_e32 v3, v3, v31
	v_add_f32_e32 v1, v1, v4
	v_fma_f32 v4, v63, s9, -v92
	v_fmac_f32_e32 v80, 0x3f3d2fb0, v59
	v_add_f32_e32 v125, v191, v125
	v_add_f32_e32 v126, v0, v126
	v_fma_f32 v191, v60, s6, -v197
	v_add_f32_e32 v127, v177, v127
	v_add_f32_e32 v128, v0, v128
	v_fma_f32 v177, v60, s8, -v183
	;; [unrolled: 3-line block ×5, first 2 shown]
	v_add_f32_e32 v77, v78, v77
	v_mul_f32_e32 v78, 0x3dbcf732, v64
	v_add_f32_e32 v83, v83, v114
	v_mul_f32_e32 v114, 0x3dbcf732, v68
	v_add_f32_e32 v67, v69, v67
	v_sub_f32_e32 v69, v111, v73
	v_add_f32_e32 v3, v3, v21
	v_add_f32_e32 v1, v4, v1
	v_fma_f32 v4, v65, s15, -v96
	v_add_f32_e32 v0, v0, v80
	v_fmac_f32_e32 v82, 0x3dbcf732, v60
	v_add_f32_e32 v126, v191, v126
	v_fma_f32 v191, v62, s16, -v198
	v_add_f32_e32 v128, v177, v128
	v_fma_f32 v177, v62, s9, -v184
	;; [unrolled: 2-line block ×5, first 2 shown]
	v_add_f32_e32 v77, v83, v77
	v_mul_f32_e32 v83, 0xbe8c1d8e, v66
	v_add_f32_e32 v85, v85, v114
	v_mul_f32_e32 v114, 0xbe8c1d8e, v71
	v_add_f32_e32 v67, v69, v67
	v_sub_f32_e32 v69, v78, v76
	v_add_f32_e32 v3, v3, v23
	v_add_f32_e32 v1, v4, v1
	v_fma_f32 v4, v68, s17, -v99
	v_add_f32_e32 v0, v82, v0
	v_fmac_f32_e32 v86, 0xbf1a4643, v62
	v_add_f32_e32 v125, v192, v125
	v_add_f32_e32 v126, v191, v126
	v_fma_f32 v191, v64, s7, -v199
	v_add_f32_e32 v127, v178, v127
	v_add_f32_e32 v128, v177, v128
	v_fma_f32 v177, v64, s15, -v185
	v_add_f32_e32 v129, v164, v129
	v_add_f32_e32 v130, v163, v130
	v_fma_f32 v163, v64, s16, -v171
	v_add_f32_e32 v131, v150, v131
	v_add_f32_e32 v132, v149, v132
	v_fma_f32 v149, v64, s8, -v157
	v_add_f32_e32 v133, v136, v133
	v_add_f32_e32 v134, v135, v134
	v_fma_f32 v135, v64, s6, -v143
	v_add_f32_e32 v77, v85, v77
	v_mul_f32_e32 v85, 0xbf1a4643, v70
	v_add_f32_e32 v89, v89, v114
	v_mul_f32_e32 v114, 0xbf1a4643, v74
	v_add_f32_e32 v67, v69, v67
	v_sub_f32_e32 v69, v83, v81
	v_add_f32_e32 v3, v3, v13
	v_add_f32_e32 v1, v4, v1
	v_fma_f32 v4, v71, s16, -v102
	v_add_f32_e32 v0, v86, v0
	v_fmac_f32_e32 v113, 0xbf7ba420, v64
	v_add_f32_e32 v125, v193, v125
	v_add_f32_e32 v126, v191, v126
	v_fma_f32 v191, v66, s15, -v200
	v_add_f32_e32 v127, v179, v127
	v_add_f32_e32 v128, v177, v128
	v_fma_f32 v177, v66, s6, -v186
	v_add_f32_e32 v129, v165, v129
	v_add_f32_e32 v130, v163, v130
	v_fma_f32 v163, v66, s9, -v172
	v_add_f32_e32 v131, v151, v131
	v_add_f32_e32 v132, v149, v132
	v_fma_f32 v149, v66, s17, -v158
	v_add_f32_e32 v133, v137, v133
	v_add_f32_e32 v134, v135, v134
	v_fma_f32 v135, v66, s8, -v144
	;; [unrolled: 26-line block ×3, first 2 shown]
	v_add_f32_e32 v77, v93, v77
	v_mul_f32_e32 v93, 0xbf7ba420, v75
	v_add_f32_e32 v97, v97, v114
	v_mul_f32_e32 v114, 0xbf7ba420, v84
	v_add_f32_e32 v67, v69, v67
	v_sub_f32_e32 v69, v89, v88
	v_add_f32_e32 v3, v3, v5
	v_add_f32_e32 v1, v4, v1
	v_fma_f32 v4, v79, s8, -v105
	v_add_f32_e32 v0, v94, v0
	v_fmac_f32_e32 v98, 0xbe8c1d8e, v70
	v_add_f32_e32 v124, v124, v123
	v_mov_b32_e32 v123, v205
	v_add_f32_e32 v125, v195, v125
	v_add_f32_e32 v126, v191, v126
	v_fma_f32 v191, v72, s14, -v202
	v_add_f32_e32 v127, v181, v127
	v_add_f32_e32 v128, v177, v128
	v_fma_f32 v177, v72, s7, -v188
	;; [unrolled: 3-line block ×5, first 2 shown]
	v_add_f32_e32 v77, v97, v77
	v_add_f32_e32 v97, v100, v114
	;; [unrolled: 1-line block ×3, first 2 shown]
	v_sub_f32_e32 v69, v93, v95
	v_add_f32_e32 v3, v3, v7
	v_add_f32_e32 v2, v2, v6
	v_add_f32_e32 v1, v4, v1
	v_fma_f32 v4, v84, s6, -v106
	v_add_f32_e32 v0, v98, v0
	v_fmac_f32_e32 v101, 0x3ee437d1, v72
	v_fmac_f32_e32 v123, 0x3dbcf732, v75
	v_add_f32_e32 v191, v191, v126
	v_add_f32_e32 v126, v204, v125
	v_fma_f32 v125, v75, s9, -v205
	v_add_f32_e32 v177, v177, v128
	v_add_f32_e32 v128, v189, v127
	v_fma_f32 v127, v75, s14, -v190
	;; [unrolled: 3-line block ×5, first 2 shown]
	v_add_f32_e32 v77, v97, v77
	v_add_f32_e32 v76, v69, v67
	;; [unrolled: 1-line block ×6, first 2 shown]
	v_fmac_f32_e32 v103, 0x3f6eb680, v75
	v_lshl_add_u32 v4, v34, 7, v52
	v_add_f32_e32 v123, v123, v203
	v_add_f32_e32 v125, v125, v191
	;; [unrolled: 1-line block ×7, first 2 shown]
	ds_write2_b64 v4, v[2:3], v[76:77] offset1:1
	ds_write2_b64 v4, v[90:91], v[107:108] offset0:2 offset1:3
	ds_write2_b64 v4, v[133:134], v[131:132] offset0:4 offset1:5
	;; [unrolled: 1-line block ×7, first 2 shown]
	ds_write_b64 v4, v[38:39] offset:128
.LBB0_15:
	s_or_b64 exec, exec, s[4:5]
	s_load_dwordx2 s[4:5], s[2:3], 0x0
	s_movk_i32 s2, 0xf1
	v_mul_lo_u16_sdwa v51, v34, s2 dst_sel:DWORD dst_unused:UNUSED_PAD src0_sel:BYTE_0 src1_sel:DWORD
	v_lshrrev_b16_e32 v73, 12, v51
	v_add_u16_e32 v45, 0x66, v34
	v_mul_lo_u16_e32 v0, 17, v73
	v_mul_lo_u16_sdwa v75, v45, s2 dst_sel:DWORD dst_unused:UNUSED_PAD src0_sel:BYTE_0 src1_sel:DWORD
	v_add_u32_e32 v47, 0xcc, v34
	v_sub_u16_e32 v0, v34, v0
	v_mov_b32_e32 v43, 3
	v_lshrrev_b16_e32 v76, 12, v75
	s_mov_b32 s2, 0xf0f1
	v_lshlrev_b32_sdwa v74, v43, v0 dst_sel:DWORD dst_unused:UNUSED_PAD src0_sel:DWORD src1_sel:BYTE_0
	v_mul_lo_u16_e32 v0, 17, v76
	v_mul_u32_u24_sdwa v50, v47, s2 dst_sel:DWORD dst_unused:UNUSED_PAD src0_sel:WORD_0 src1_sel:DWORD
	v_add_u32_e32 v46, 0x132, v34
	v_sub_u16_e32 v0, v45, v0
	v_lshrrev_b32_e32 v78, 20, v50
	v_lshlrev_b32_sdwa v77, v43, v0 dst_sel:DWORD dst_unused:UNUSED_PAD src0_sel:DWORD src1_sel:BYTE_0
	v_mul_lo_u16_e32 v0, 17, v78
	v_mul_u32_u24_sdwa v49, v46, s2 dst_sel:DWORD dst_unused:UNUSED_PAD src0_sel:WORD_0 src1_sel:DWORD
	v_add_u32_e32 v44, 0x198, v34
	v_sub_u16_e32 v0, v47, v0
	v_lshrrev_b32_e32 v80, 20, v49
	v_lshlrev_b32_e32 v79, 3, v0
	v_mul_lo_u16_e32 v0, 17, v80
	v_mul_u32_u24_sdwa v48, v44, s2 dst_sel:DWORD dst_unused:UNUSED_PAD src0_sel:WORD_0 src1_sel:DWORD
	v_add_u32_e32 v42, 0x1fe, v34
	v_sub_u16_e32 v0, v46, v0
	v_lshrrev_b32_e32 v82, 20, v48
	v_lshlrev_b32_e32 v81, 3, v0
	v_mul_lo_u16_e32 v0, 17, v82
	v_mul_u32_u24_sdwa v86, v42, s2 dst_sel:DWORD dst_unused:UNUSED_PAD src0_sel:WORD_0 src1_sel:DWORD
	v_sub_u16_e32 v0, v44, v0
	v_add_u32_e32 v84, 0x264, v34
	v_lshrrev_b32_e32 v87, 20, v86
	v_lshlrev_b32_e32 v83, 3, v0
	v_mul_lo_u16_e32 v0, 17, v87
	v_mul_u32_u24_sdwa v89, v84, s2 dst_sel:DWORD dst_unused:UNUSED_PAD src0_sel:WORD_0 src1_sel:DWORD
	v_add_u32_e32 v85, 0x2ca, v34
	v_sub_u16_e32 v0, v42, v0
	v_lshrrev_b32_e32 v90, 20, v89
	v_lshlrev_b32_e32 v88, 3, v0
	v_mul_lo_u16_e32 v0, 17, v90
	v_mul_u32_u24_sdwa v92, v85, s2 dst_sel:DWORD dst_unused:UNUSED_PAD src0_sel:WORD_0 src1_sel:DWORD
	v_sub_u16_e32 v0, v84, v0
	v_lshrrev_b32_e32 v93, 20, v92
	s_waitcnt lgkmcnt(0)
	s_barrier
	global_load_dwordx2 v[40:41], v74, s[12:13]
	global_load_dwordx2 v[59:60], v77, s[12:13]
	;; [unrolled: 1-line block ×6, first 2 shown]
	v_lshlrev_b32_e32 v91, 3, v0
	global_load_dwordx2 v[69:70], v91, s[12:13]
	v_mul_lo_u16_e32 v0, 17, v93
	v_sub_u16_e32 v0, v85, v0
	v_lshlrev_b32_e32 v94, 3, v0
	global_load_dwordx2 v[71:72], v94, s[12:13]
	ds_read2_b64 v[0:3], v52 offset1:102
	ds_read2_b64 v[4:7], v56 offset0:48 offset1:150
	ds_read2_b64 v[8:11], v53 offset0:76 offset1:178
	;; [unrolled: 1-line block ×4, first 2 shown]
	v_add_u32_e32 v95, 0x2400, v52
	ds_read2_b64 v[20:23], v55 offset0:100 offset1:202
	ds_read2_b64 v[24:27], v35 offset0:148 offset1:250
	;; [unrolled: 1-line block ×3, first 2 shown]
	s_waitcnt vmcnt(0) lgkmcnt(0)
	s_barrier
	v_lshrrev_b16_e32 v51, 13, v51
	v_cmp_gt_u32_e32 vcc, 34, v34
	v_mul_f32_e32 v96, v41, v5
	v_mul_f32_e32 v41, v41, v4
	v_fma_f32 v4, v40, v4, -v96
	v_fmac_f32_e32 v41, v40, v5
	v_mul_f32_e32 v100, v29, v66
	v_fma_f32 v40, v28, v65, -v100
	v_mul_f32_e32 v28, v28, v66
	v_mul_f32_e32 v5, v31, v68
	v_fmac_f32_e32 v28, v29, v65
	v_fma_f32 v29, v30, v67, -v5
	v_mul_f32_e32 v30, v30, v68
	v_mul_f32_e32 v5, v25, v70
	;; [unrolled: 1-line block ×6, first 2 shown]
	v_fmac_f32_e32 v30, v31, v67
	v_fma_f32 v31, v24, v69, -v5
	v_mul_f32_e32 v5, v27, v72
	v_fma_f32 v6, v59, v6, -v97
	v_fmac_f32_e32 v60, v59, v7
	v_fma_f32 v12, v61, v12, -v98
	v_fmac_f32_e32 v62, v61, v13
	v_mul_f32_e32 v59, v24, v70
	v_fma_f32 v61, v26, v71, -v5
	v_sub_f32_e32 v4, v0, v4
	v_sub_f32_e32 v5, v1, v41
	v_sub_f32_e32 v24, v16, v40
	v_mul_u32_u24_e32 v40, 0x110, v73
	v_fma_f32 v0, v0, 2.0, -v4
	v_fma_f32 v1, v1, 2.0, -v5
	v_add3_u32 v40, 0, v40, v74
	v_sub_f32_e32 v6, v2, v6
	v_sub_f32_e32 v7, v3, v60
	ds_write2_b64 v40, v[0:1], v[4:5] offset1:17
	v_mul_u32_u24_e32 v0, 0x110, v76
	v_fma_f32 v2, v2, 2.0, -v6
	v_fma_f32 v3, v3, 2.0, -v7
	v_add3_u32 v0, 0, v0, v77
	v_mul_f32_e32 v99, v64, v15
	v_mul_f32_e32 v64, v64, v14
	v_sub_f32_e32 v12, v8, v12
	v_sub_f32_e32 v13, v9, v62
	ds_write2_b64 v0, v[2:3], v[6:7] offset1:17
	v_mul_u32_u24_e32 v0, 0x110, v78
	v_fma_f32 v14, v63, v14, -v99
	v_fmac_f32_e32 v64, v63, v15
	v_fma_f32 v8, v8, 2.0, -v12
	v_fma_f32 v9, v9, 2.0, -v13
	v_add3_u32 v0, 0, v0, v79
	v_sub_f32_e32 v14, v10, v14
	v_sub_f32_e32 v15, v11, v64
	ds_write2_b64 v0, v[8:9], v[12:13] offset1:17
	v_mul_u32_u24_e32 v0, 0x110, v80
	v_fma_f32 v10, v10, 2.0, -v14
	v_fma_f32 v11, v11, 2.0, -v15
	v_add3_u32 v0, 0, v0, v81
	v_fmac_f32_e32 v59, v25, v69
	v_sub_f32_e32 v25, v17, v28
	ds_write2_b64 v0, v[10:11], v[14:15] offset1:17
	v_mul_u32_u24_e32 v0, 0x110, v82
	v_mul_f32_e32 v63, v26, v72
	v_fma_f32 v16, v16, 2.0, -v24
	v_fma_f32 v17, v17, 2.0, -v25
	v_add3_u32 v0, 0, v0, v83
	v_fmac_f32_e32 v63, v27, v71
	v_sub_f32_e32 v26, v18, v29
	v_sub_f32_e32 v27, v19, v30
	ds_write2_b64 v0, v[16:17], v[24:25] offset1:17
	v_mul_u32_u24_e32 v0, 0x110, v87
	v_fma_f32 v18, v18, 2.0, -v26
	v_fma_f32 v19, v19, 2.0, -v27
	v_add3_u32 v0, 0, v0, v88
	v_sub_f32_e32 v28, v20, v31
	v_sub_f32_e32 v29, v21, v59
	ds_write2_b64 v0, v[18:19], v[26:27] offset1:17
	v_mul_u32_u24_e32 v0, 0x110, v90
	v_fma_f32 v20, v20, 2.0, -v28
	v_fma_f32 v21, v21, 2.0, -v29
	v_add3_u32 v0, 0, v0, v91
	;; [unrolled: 7-line block ×3, first 2 shown]
	ds_write2_b64 v0, v[22:23], v[30:31] offset1:17
	v_mul_lo_u16_e32 v0, 34, v51
	v_sub_u16_e32 v0, v34, v0
	v_lshrrev_b16_e32 v74, 13, v75
	v_lshlrev_b32_sdwa v73, v43, v0 dst_sel:DWORD dst_unused:UNUSED_PAD src0_sel:DWORD src1_sel:BYTE_0
	v_mul_lo_u16_e32 v0, 34, v74
	v_sub_u16_e32 v0, v45, v0
	v_lshrrev_b32_e32 v76, 21, v50
	v_lshlrev_b32_sdwa v75, v43, v0 dst_sel:DWORD dst_unused:UNUSED_PAD src0_sel:DWORD src1_sel:BYTE_0
	v_mul_lo_u16_e32 v0, 34, v76
	v_sub_u16_e32 v0, v47, v0
	v_lshrrev_b32_e32 v78, 21, v49
	v_lshlrev_b32_e32 v77, 3, v0
	v_mul_lo_u16_e32 v0, 34, v78
	v_sub_u16_e32 v0, v46, v0
	v_lshrrev_b32_e32 v80, 21, v48
	v_lshlrev_b32_e32 v79, 3, v0
	v_mul_lo_u16_e32 v0, 34, v80
	v_sub_u16_e32 v0, v44, v0
	v_lshrrev_b32_e32 v82, 21, v86
	s_waitcnt lgkmcnt(0)
	s_barrier
	global_load_dwordx2 v[40:41], v73, s[12:13] offset:136
	global_load_dwordx2 v[59:60], v75, s[12:13] offset:136
	v_lshlrev_b32_e32 v81, 3, v0
	v_mul_lo_u16_e32 v0, 34, v82
	v_sub_u16_e32 v0, v42, v0
	v_lshrrev_b32_e32 v86, 21, v89
	v_lshlrev_b32_e32 v83, 3, v0
	v_mul_lo_u16_e32 v0, 34, v86
	global_load_dwordx2 v[61:62], v77, s[12:13] offset:136
	global_load_dwordx2 v[63:64], v79, s[12:13] offset:136
	v_sub_u16_e32 v0, v84, v0
	v_lshrrev_b32_e32 v87, 21, v92
	global_load_dwordx2 v[65:66], v81, s[12:13] offset:136
	global_load_dwordx2 v[67:68], v83, s[12:13] offset:136
	v_lshlrev_b32_e32 v84, 3, v0
	global_load_dwordx2 v[69:70], v84, s[12:13] offset:136
	v_mul_lo_u16_e32 v0, 34, v87
	v_sub_u16_e32 v0, v85, v0
	v_lshlrev_b32_e32 v85, 3, v0
	global_load_dwordx2 v[71:72], v85, s[12:13] offset:136
	ds_read2_b64 v[0:3], v52 offset1:102
	ds_read2_b64 v[4:7], v56 offset0:48 offset1:150
	ds_read2_b64 v[8:11], v53 offset0:76 offset1:178
	;; [unrolled: 1-line block ×7, first 2 shown]
	s_waitcnt vmcnt(0) lgkmcnt(0)
	s_barrier
	v_mul_f32_e32 v57, v41, v5
	v_fma_f32 v57, v40, v4, -v57
	v_mul_f32_e32 v41, v41, v4
	v_mul_f32_e32 v4, v60, v7
	v_fmac_f32_e32 v41, v40, v5
	v_fma_f32 v40, v59, v6, -v4
	v_mul_f32_e32 v58, v60, v6
	v_mul_f32_e32 v4, v62, v13
	v_fmac_f32_e32 v58, v59, v7
	;; [unrolled: 4-line block ×7, first 2 shown]
	v_fma_f32 v29, v30, v71, -v4
	v_sub_f32_e32 v4, v0, v57
	v_sub_f32_e32 v5, v1, v41
	;; [unrolled: 1-line block ×3, first 2 shown]
	v_mul_u32_u24_e32 v40, 0x220, v51
	v_fma_f32 v0, v0, 2.0, -v4
	v_fma_f32 v1, v1, 2.0, -v5
	v_add3_u32 v40, 0, v40, v73
	v_sub_f32_e32 v7, v3, v58
	ds_write2_b64 v40, v[0:1], v[4:5] offset1:34
	v_mul_u32_u24_e32 v0, 0x220, v74
	v_fma_f32 v2, v2, 2.0, -v6
	v_fma_f32 v3, v3, 2.0, -v7
	v_add3_u32 v0, 0, v0, v75
	v_sub_f32_e32 v12, v8, v59
	v_sub_f32_e32 v13, v9, v60
	ds_write2_b64 v0, v[2:3], v[6:7] offset1:34
	v_mul_u32_u24_e32 v0, 0x220, v76
	v_fma_f32 v8, v8, 2.0, -v12
	v_fma_f32 v9, v9, 2.0, -v13
	v_add3_u32 v0, 0, v0, v77
	v_sub_f32_e32 v14, v10, v61
	;; [unrolled: 7-line block ×4, first 2 shown]
	v_sub_f32_e32 v23, v19, v66
	ds_write2_b64 v0, v[16:17], v[20:21] offset1:34
	v_mul_u32_u24_e32 v0, 0x220, v82
	v_mul_f32_e32 v68, v30, v72
	v_fma_f32 v18, v18, 2.0, -v22
	v_fma_f32 v19, v19, 2.0, -v23
	v_add3_u32 v0, 0, v0, v83
	v_fmac_f32_e32 v68, v31, v71
	v_sub_f32_e32 v30, v24, v67
	v_sub_f32_e32 v31, v25, v28
	ds_write2_b64 v0, v[18:19], v[22:23] offset1:34
	v_mul_u32_u24_e32 v0, 0x220, v86
	v_fma_f32 v24, v24, 2.0, -v30
	v_fma_f32 v25, v25, 2.0, -v31
	v_add3_u32 v0, 0, v0, v84
	v_sub_f32_e32 v28, v26, v29
	v_sub_f32_e32 v29, v27, v68
	ds_write2_b64 v0, v[24:25], v[30:31] offset1:34
	v_mul_u32_u24_e32 v0, 0x220, v87
	v_fma_f32 v26, v26, 2.0, -v28
	v_fma_f32 v27, v27, 2.0, -v29
	v_add3_u32 v0, 0, v0, v85
	ds_write2_b64 v0, v[26:27], v[28:29] offset1:34
	v_add_u32_e32 v0, 0xc00, v52
	s_waitcnt lgkmcnt(0)
	s_barrier
	ds_read2_b64 v[8:11], v52 offset1:102
	ds_read2_b64 v[0:3], v0 offset0:24 offset1:160
	ds_read2_b64 v[12:15], v54 offset0:64 offset1:166
	;; [unrolled: 1-line block ×6, first 2 shown]
	ds_read_b64 v[40:41], v52 offset:11968
                                        ; implicit-def: $vgpr31
	s_and_saveexec_b64 s[2:3], vcc
	s_cbranch_execz .LBB0_17
; %bb.16:
	ds_read_b64 v[28:29], v52 offset:4080
	ds_read_b64 v[38:39], v52 offset:8432
	;; [unrolled: 1-line block ×3, first 2 shown]
.LBB0_17:
	s_or_b64 exec, exec, s[2:3]
	s_movk_i32 s2, 0x44
	v_add_u32_e32 v35, 0xffffffbc, v34
	v_lshrrev_b32_e32 v69, 22, v50
	v_cmp_gt_u32_e64 s[2:3], s2, v34
	v_mul_lo_u16_e32 v50, 0x44, v69
	v_cndmask_b32_e64 v35, v35, v34, s[2:3]
	v_sub_u16_e32 v70, v47, v50
	v_lshlrev_b32_e32 v50, 1, v35
	v_mov_b32_e32 v51, 0
	v_lshlrev_b64 v[50:51], 3, v[50:51]
	v_lshrrev_b32_e32 v71, 22, v49
	v_mov_b32_e32 v61, s13
	v_add_co_u32_e64 v50, s[2:3], s12, v50
	v_mul_lo_u16_e32 v49, 0x44, v71
	v_addc_co_u32_e64 v51, s[2:3], v61, v51, s[2:3]
	v_sub_u16_e32 v72, v46, v49
	s_movk_i32 s2, 0x79
	v_lshlrev_b32_e32 v47, 4, v70
	v_lshlrev_b32_e32 v46, 4, v72
	v_lshrrev_b32_e32 v73, 22, v48
	v_mul_lo_u16_sdwa v61, v45, s2 dst_sel:DWORD dst_unused:UNUSED_PAD src0_sel:BYTE_0 src1_sel:DWORD
	global_load_dwordx4 v[53:56], v47, s[12:13] offset:408
	global_load_dwordx4 v[57:60], v46, s[12:13] offset:408
	v_mul_lo_u16_e32 v46, 0x44, v73
	v_lshrrev_b16_e32 v74, 13, v61
	v_sub_u16_e32 v44, v44, v46
	v_mul_lo_u16_e32 v65, 0x44, v74
	v_lshlrev_b32_e32 v46, 4, v44
	global_load_dwordx4 v[61:64], v[50:51], off offset:408
	v_sub_u16_e32 v45, v45, v65
	v_mov_b32_e32 v50, 4
	global_load_dwordx4 v[46:49], v46, s[12:13] offset:408
	v_lshlrev_b32_sdwa v50, v50, v45 dst_sel:DWORD dst_unused:UNUSED_PAD src0_sel:DWORD src1_sel:BYTE_0
	global_load_dwordx4 v[65:68], v50, s[12:13] offset:408
	s_movk_i32 s2, 0x43
	v_cmp_lt_u32_e64 s[2:3], s2, v34
	v_lshlrev_b32_e32 v35, 3, v35
	s_waitcnt vmcnt(0) lgkmcnt(0)
	s_barrier
	v_mul_f32_e32 v50, v54, v19
	v_mul_f32_e32 v51, v54, v18
	;; [unrolled: 1-line block ×4, first 2 shown]
	v_fma_f32 v50, v53, v18, -v50
	v_fmac_f32_e32 v51, v53, v19
	v_fma_f32 v53, v55, v20, -v54
	v_mul_f32_e32 v18, v62, v3
	v_mul_f32_e32 v19, v62, v2
	v_mul_f32_e32 v20, v64, v13
	v_mul_f32_e32 v75, v58, v25
	v_mul_f32_e32 v58, v58, v24
	v_mul_f32_e32 v76, v23, v60
	v_mul_f32_e32 v60, v22, v60
	v_mul_f32_e32 v77, v27, v47
	v_fmac_f32_e32 v56, v55, v21
	v_mul_f32_e32 v21, v64, v12
	v_fma_f32 v2, v61, v2, -v18
	v_fmac_f32_e32 v19, v61, v3
	v_fma_f32 v3, v63, v12, -v20
	v_mul_f32_e32 v47, v26, v47
	v_fma_f32 v54, v57, v24, -v75
	v_fmac_f32_e32 v58, v57, v25
	v_fma_f32 v25, v22, v59, -v76
	v_fmac_f32_e32 v60, v23, v59
	v_fma_f32 v55, v26, v46, -v77
	v_mul_f32_e32 v22, v66, v17
	v_mul_f32_e32 v23, v66, v16
	;; [unrolled: 1-line block ×4, first 2 shown]
	v_fmac_f32_e32 v21, v63, v13
	v_add_f32_e32 v13, v2, v3
	v_fma_f32 v18, v65, v16, -v22
	v_fmac_f32_e32 v23, v65, v17
	v_fma_f32 v17, v67, v14, -v24
	v_fmac_f32_e32 v26, v67, v15
	v_add_f32_e32 v12, v8, v2
	v_add_f32_e32 v15, v9, v19
	v_add_f32_e32 v16, v19, v21
	v_fma_f32 v8, -0.5, v13, v8
	v_sub_f32_e32 v14, v19, v21
	v_sub_f32_e32 v19, v2, v3
	v_add_f32_e32 v2, v12, v3
	v_add_f32_e32 v3, v15, v21
	v_fma_f32 v9, -0.5, v16, v9
	v_mov_b32_e32 v12, v8
	v_add_f32_e32 v15, v18, v17
	v_fmac_f32_e32 v8, 0xbf5db3d7, v14
	v_mov_b32_e32 v13, v9
	v_fmac_f32_e32 v12, 0x3f5db3d7, v14
	v_add_f32_e32 v14, v10, v18
	v_fma_f32 v10, -0.5, v15, v10
	v_fmac_f32_e32 v9, 0x3f5db3d7, v19
	v_fmac_f32_e32 v13, 0xbf5db3d7, v19
	v_sub_f32_e32 v15, v23, v26
	v_mov_b32_e32 v16, v10
	v_add_f32_e32 v19, v23, v26
	v_fmac_f32_e32 v16, 0x3f5db3d7, v15
	v_fmac_f32_e32 v10, 0xbf5db3d7, v15
	v_add_f32_e32 v15, v11, v23
	v_fmac_f32_e32 v11, -0.5, v19
	v_add_f32_e32 v14, v14, v17
	v_sub_f32_e32 v18, v18, v17
	v_mov_b32_e32 v17, v11
	v_add_f32_e32 v19, v50, v53
	v_fmac_f32_e32 v17, 0xbf5db3d7, v18
	v_fmac_f32_e32 v11, 0x3f5db3d7, v18
	v_add_f32_e32 v18, v4, v50
	v_fma_f32 v4, -0.5, v19, v4
	v_sub_f32_e32 v19, v51, v56
	v_mov_b32_e32 v20, v4
	v_add_f32_e32 v21, v51, v56
	v_fmac_f32_e32 v20, 0x3f5db3d7, v19
	v_fmac_f32_e32 v4, 0xbf5db3d7, v19
	v_add_f32_e32 v19, v5, v51
	v_fma_f32 v5, -0.5, v21, v5
	;; [unrolled: 7-line block ×3, first 2 shown]
	v_mul_f32_e32 v78, v41, v49
	v_add_f32_e32 v15, v15, v26
	v_sub_f32_e32 v23, v58, v60
	v_mov_b32_e32 v24, v6
	v_add_f32_e32 v26, v58, v60
	v_fmac_f32_e32 v47, v27, v46
	v_fma_f32 v46, v40, v48, -v78
	v_fmac_f32_e32 v24, 0x3f5db3d7, v23
	v_fmac_f32_e32 v6, 0xbf5db3d7, v23
	v_add_f32_e32 v23, v7, v58
	v_fmac_f32_e32 v7, -0.5, v26
	v_mul_f32_e32 v49, v40, v49
	v_add_f32_e32 v22, v22, v25
	v_sub_f32_e32 v26, v54, v25
	v_mov_b32_e32 v25, v7
	v_add_f32_e32 v27, v55, v46
	v_fmac_f32_e32 v49, v41, v48
	v_fmac_f32_e32 v25, 0xbf5db3d7, v26
	;; [unrolled: 1-line block ×3, first 2 shown]
	v_add_f32_e32 v26, v0, v55
	v_fma_f32 v0, -0.5, v27, v0
	v_sub_f32_e32 v27, v47, v49
	v_mov_b32_e32 v40, v0
	v_add_f32_e32 v41, v47, v49
	v_fmac_f32_e32 v40, 0x3f5db3d7, v27
	v_fmac_f32_e32 v0, 0xbf5db3d7, v27
	v_add_f32_e32 v27, v1, v47
	v_fmac_f32_e32 v1, -0.5, v41
	v_add_f32_e32 v26, v26, v46
	v_sub_f32_e32 v46, v55, v46
	v_mov_b32_e32 v41, v1
	v_fmac_f32_e32 v41, 0xbf5db3d7, v46
	v_fmac_f32_e32 v1, 0x3f5db3d7, v46
	v_mov_b32_e32 v46, 0x660
	v_cndmask_b32_e64 v46, 0, v46, s[2:3]
	v_add3_u32 v35, 0, v46, v35
	ds_write2_b64 v35, v[2:3], v[12:13] offset1:68
	ds_write_b64 v35, v[8:9] offset:1088
	v_mul_u32_u24_e32 v2, 0x660, v74
	v_lshlrev_b32_sdwa v3, v43, v45 dst_sel:DWORD dst_unused:UNUSED_PAD src0_sel:DWORD src1_sel:BYTE_0
	v_add3_u32 v2, 0, v2, v3
	ds_write2_b64 v2, v[14:15], v[16:17] offset1:68
	ds_write_b64 v2, v[10:11] offset:1088
	v_mul_u32_u24_e32 v2, 0x660, v69
	v_lshlrev_b32_e32 v3, 3, v70
	v_add_f32_e32 v18, v18, v53
	v_add_f32_e32 v19, v19, v56
	v_add3_u32 v2, 0, v2, v3
	ds_write2_b64 v2, v[18:19], v[20:21] offset1:68
	ds_write_b64 v2, v[4:5] offset:1088
	v_mul_u32_u24_e32 v2, 0x660, v71
	v_lshlrev_b32_e32 v3, 3, v72
	v_add_f32_e32 v23, v23, v60
	v_add3_u32 v2, 0, v2, v3
	ds_write2_b64 v2, v[22:23], v[24:25] offset1:68
	ds_write_b64 v2, v[6:7] offset:1088
	v_mul_u32_u24_e32 v2, 0x660, v73
	v_lshlrev_b32_e32 v3, 3, v44
	v_add_f32_e32 v27, v27, v49
	v_add3_u32 v2, 0, v2, v3
	ds_write2_b64 v2, v[26:27], v[40:41] offset1:68
	ds_write_b64 v2, v[0:1] offset:1088
	s_and_saveexec_b64 s[2:3], vcc
	s_cbranch_execz .LBB0_19
; %bb.18:
	s_mov_b32 s6, 0xf0f1
	v_mul_u32_u24_sdwa v0, v42, s6 dst_sel:DWORD dst_unused:UNUSED_PAD src0_sel:WORD_0 src1_sel:DWORD
	v_lshrrev_b32_e32 v0, 22, v0
	v_mul_lo_u16_e32 v0, 0x44, v0
	v_sub_u16_e32 v4, v42, v0
	v_lshlrev_b32_e32 v0, 4, v4
	global_load_dwordx4 v[0:3], v0, s[12:13] offset:408
	v_lshl_add_u32 v6, v4, 3, 0
	v_add_u32_e32 v7, 0x2800, v6
	s_waitcnt vmcnt(0)
	v_mul_f32_e32 v4, v39, v1
	v_mul_f32_e32 v5, v31, v3
	;; [unrolled: 1-line block ×4, first 2 shown]
	v_fma_f32 v4, v38, v0, -v4
	v_fma_f32 v5, v30, v2, -v5
	v_fmac_f32_e32 v1, v39, v0
	v_fmac_f32_e32 v3, v31, v2
	v_add_f32_e32 v0, v1, v3
	v_add_f32_e32 v9, v4, v5
	v_sub_f32_e32 v8, v4, v5
	v_add_f32_e32 v2, v29, v1
	v_sub_f32_e32 v10, v1, v3
	v_add_f32_e32 v4, v28, v4
	v_fma_f32 v1, -0.5, v0, v29
	v_fma_f32 v0, -0.5, v9, v28
	v_add_f32_e32 v3, v2, v3
	v_add_f32_e32 v2, v4, v5
	v_mov_b32_e32 v5, v1
	v_fmac_f32_e32 v1, 0xbf5db3d7, v8
	v_mov_b32_e32 v4, v0
	v_fmac_f32_e32 v0, 0x3f5db3d7, v10
	v_fmac_f32_e32 v5, 0x3f5db3d7, v8
	;; [unrolled: 1-line block ×3, first 2 shown]
	ds_write2_b64 v7, v[2:3], v[0:1] offset0:148 offset1:216
	ds_write_b64 v6, v[4:5] offset:12512
.LBB0_19:
	s_or_b64 exec, exec, s[2:3]
	v_mul_u32_u24_e32 v0, 7, v34
	v_lshlrev_b32_e32 v12, 3, v0
	v_mov_b32_e32 v13, s13
	v_add_co_u32_e32 v16, vcc, s12, v12
	s_movk_i32 s2, 0x1000
	v_addc_co_u32_e32 v17, vcc, 0, v13, vcc
	s_waitcnt lgkmcnt(0)
	s_barrier
	global_load_dwordx4 v[0:3], v12, s[12:13] offset:1496
	global_load_dwordx4 v[4:7], v12, s[12:13] offset:1512
	;; [unrolled: 1-line block ×3, first 2 shown]
	global_load_dwordx2 v[50:51], v12, s[12:13] offset:1544
	v_add_co_u32_e32 v12, vcc, s2, v16
	s_movk_i32 s3, 0x1c28
	v_addc_co_u32_e32 v13, vcc, 0, v17, vcc
	global_load_dwordx4 v[12:15], v[12:13], off offset:3112
	v_add_co_u32_e32 v24, vcc, s3, v16
	v_addc_co_u32_e32 v25, vcc, 0, v17, vcc
	global_load_dwordx4 v[16:19], v[24:25], off offset:16
	global_load_dwordx4 v[20:23], v[24:25], off offset:32
	global_load_dwordx2 v[65:66], v[24:25], off offset:48
	v_add_u32_e32 v35, 0x400, v52
	ds_read2_b64 v[24:27], v52 offset1:102
	v_add_u32_e32 v67, 0x800, v52
	v_add_u32_e32 v68, 0x1000, v52
	;; [unrolled: 1-line block ×6, first 2 shown]
	ds_read2_b64 v[28:31], v35 offset0:76 offset1:178
	ds_read2_b64 v[38:41], v67 offset0:152 offset1:254
	;; [unrolled: 1-line block ×7, first 2 shown]
	s_waitcnt vmcnt(0) lgkmcnt(0)
	s_barrier
	s_add_u32 s6, s12, 0x3278
	s_addc_u32 s7, s13, 0
	v_cmp_ne_u32_e32 vcc, 0, v34
	v_mul_f32_e32 v73, v1, v29
	v_mul_f32_e32 v1, v1, v28
	;; [unrolled: 1-line block ×5, first 2 shown]
	v_fma_f32 v28, v0, v28, -v73
	v_fmac_f32_e32 v1, v0, v29
	v_fma_f32 v0, v2, v38, -v74
	v_mul_f32_e32 v5, v5, v42
	v_mul_f32_e32 v29, v31, v13
	;; [unrolled: 1-line block ×10, first 2 shown]
	v_fmac_f32_e32 v3, v2, v39
	v_fma_f32 v2, v4, v42, -v75
	v_mul_f32_e32 v13, v41, v15
	v_mul_f32_e32 v39, v40, v15
	;; [unrolled: 1-line block ×6, first 2 shown]
	v_fma_f32 v29, v30, v12, -v29
	v_fmac_f32_e32 v38, v31, v12
	v_mul_f32_e32 v12, v56, v21
	v_mul_f32_e32 v51, v61, v51
	v_fmac_f32_e32 v5, v4, v43
	v_fma_f32 v4, v6, v46, -v76
	v_fmac_f32_e32 v7, v6, v47
	v_fma_f32 v6, v53, v8, -v77
	;; [unrolled: 2-line block ×4, first 2 shown]
	v_fma_f32 v31, v44, v16, -v15
	v_fmac_f32_e32 v17, v45, v16
	v_fma_f32 v16, v48, v18, -v42
	v_fmac_f32_e32 v19, v49, v18
	v_fma_f32 v18, v55, v20, -v12
	v_mul_f32_e32 v21, v55, v21
	v_mul_f32_e32 v12, v60, v23
	v_fmac_f32_e32 v51, v62, v50
	v_fmac_f32_e32 v21, v56, v20
	v_fma_f32 v20, v59, v22, -v12
	v_mul_f32_e32 v23, v59, v23
	v_mul_f32_e32 v12, v64, v66
	v_sub_f32_e32 v4, v24, v4
	v_sub_f32_e32 v7, v25, v7
	;; [unrolled: 1-line block ×6, first 2 shown]
	v_fma_f32 v30, v40, v14, -v13
	v_fmac_f32_e32 v39, v41, v14
	v_fmac_f32_e32 v23, v60, v22
	v_fma_f32 v22, v63, v65, -v12
	v_fma_f32 v12, v24, 2.0, -v4
	v_fma_f32 v13, v25, 2.0, -v7
	;; [unrolled: 1-line block ×4, first 2 shown]
	v_sub_f32_e32 v9, v1, v9
	v_fma_f32 v14, v28, 2.0, -v6
	v_sub_f32_e32 v15, v5, v51
	v_fma_f32 v2, v2, 2.0, -v10
	v_fma_f32 v1, v1, 2.0, -v9
	;; [unrolled: 1-line block ×3, first 2 shown]
	v_sub_f32_e32 v24, v12, v0
	v_sub_f32_e32 v25, v13, v3
	;; [unrolled: 1-line block ×4, first 2 shown]
	v_fma_f32 v3, v12, 2.0, -v24
	v_fma_f32 v12, v13, 2.0, -v25
	v_add_f32_e32 v41, v7, v8
	v_fma_f32 v8, v4, 2.0, -v28
	v_sub_f32_e32 v13, v1, v5
	v_fma_f32 v0, v14, 2.0, -v11
	v_sub_f32_e32 v14, v6, v15
	v_fma_f32 v7, v7, 2.0, -v41
	v_fma_f32 v1, v1, 2.0, -v13
	v_add_f32_e32 v15, v9, v10
	v_fma_f32 v6, v6, 2.0, -v14
	v_mov_b32_e32 v4, v8
	v_fma_f32 v9, v9, 2.0, -v15
	v_sub_f32_e32 v0, v3, v0
	v_sub_f32_e32 v1, v12, v1
	v_fmac_f32_e32 v4, 0xbf3504f3, v6
	v_mov_b32_e32 v5, v7
	v_fma_f32 v2, v3, 2.0, -v0
	v_fma_f32 v3, v12, 2.0, -v1
	v_fmac_f32_e32 v5, 0xbf3504f3, v9
	v_fmac_f32_e32 v4, 0xbf3504f3, v9
	v_mov_b32_e32 v12, v28
	v_mul_f32_e32 v40, v63, v66
	v_fmac_f32_e32 v5, 0x3f3504f3, v6
	v_fma_f32 v6, v8, 2.0, -v4
	v_sub_f32_e32 v8, v24, v13
	v_fmac_f32_e32 v12, 0x3f3504f3, v14
	v_mov_b32_e32 v13, v41
	v_fmac_f32_e32 v40, v64, v65
	v_fmac_f32_e32 v13, 0x3f3504f3, v15
	;; [unrolled: 1-line block ×3, first 2 shown]
	v_sub_f32_e32 v16, v26, v16
	v_sub_f32_e32 v20, v30, v20
	;; [unrolled: 1-line block ×5, first 2 shown]
	v_add_f32_e32 v9, v25, v11
	v_fma_f32 v10, v24, 2.0, -v8
	v_fmac_f32_e32 v13, 0x3f3504f3, v14
	v_fma_f32 v14, v28, 2.0, -v12
	v_sub_f32_e32 v19, v27, v19
	v_fma_f32 v24, v26, 2.0, -v16
	v_fma_f32 v26, v30, 2.0, -v20
	;; [unrolled: 1-line block ×4, first 2 shown]
	v_sub_f32_e32 v22, v31, v22
	v_sub_f32_e32 v30, v17, v40
	;; [unrolled: 1-line block ×3, first 2 shown]
	v_fma_f32 v11, v25, 2.0, -v9
	v_fma_f32 v25, v27, 2.0, -v19
	;; [unrolled: 1-line block ×5, first 2 shown]
	v_add_f32_e32 v39, v19, v20
	v_fma_f32 v23, v16, 2.0, -v38
	v_sub_f32_e32 v30, v18, v30
	v_fma_f32 v40, v19, 2.0, -v39
	v_sub_f32_e32 v31, v28, v31
	v_add_f32_e32 v42, v21, v22
	v_fma_f32 v22, v18, 2.0, -v30
	v_mov_b32_e32 v20, v23
	v_fma_f32 v15, v41, 2.0, -v13
	v_sub_f32_e32 v26, v24, v26
	v_sub_f32_e32 v27, v25, v27
	;; [unrolled: 1-line block ×3, first 2 shown]
	v_fma_f32 v16, v28, 2.0, -v31
	v_fma_f32 v28, v21, 2.0, -v42
	v_fmac_f32_e32 v20, 0xbf3504f3, v22
	v_mov_b32_e32 v21, v40
	v_fma_f32 v24, v24, 2.0, -v26
	v_fma_f32 v25, v25, 2.0, -v27
	;; [unrolled: 1-line block ×3, first 2 shown]
	v_fmac_f32_e32 v21, 0xbf3504f3, v28
	v_fmac_f32_e32 v20, 0xbf3504f3, v28
	v_mov_b32_e32 v28, v38
	v_mov_b32_e32 v29, v39
	v_sub_f32_e32 v16, v24, v16
	v_sub_f32_e32 v17, v25, v17
	v_fmac_f32_e32 v28, 0x3f3504f3, v30
	v_fmac_f32_e32 v29, 0x3f3504f3, v42
	v_fma_f32 v18, v24, 2.0, -v16
	v_fma_f32 v19, v25, 2.0, -v17
	v_fmac_f32_e32 v21, 0x3f3504f3, v22
	v_sub_f32_e32 v24, v26, v41
	v_add_f32_e32 v25, v27, v31
	v_fmac_f32_e32 v28, 0xbf3504f3, v42
	v_fmac_f32_e32 v29, 0x3f3504f3, v30
	v_fma_f32 v7, v7, 2.0, -v5
	v_fma_f32 v22, v23, 2.0, -v20
	v_fma_f32 v23, v40, 2.0, -v21
	v_fma_f32 v26, v26, 2.0, -v24
	v_fma_f32 v27, v27, 2.0, -v25
	v_fma_f32 v30, v38, 2.0, -v28
	v_fma_f32 v31, v39, 2.0, -v29
	ds_write2_b64 v52, v[2:3], v[18:19] offset1:102
	ds_write2_b64 v35, v[6:7], v[22:23] offset0:76 offset1:178
	ds_write2_b64 v67, v[10:11], v[26:27] offset0:152 offset1:254
	;; [unrolled: 1-line block ×7, first 2 shown]
	s_waitcnt lgkmcnt(0)
	s_barrier
	ds_read_b64 v[2:3], v52
	v_lshlrev_b32_e32 v0, 3, v34
	v_sub_u32_e32 v6, 0, v0
                                        ; implicit-def: $vgpr0
                                        ; implicit-def: $vgpr7
                                        ; implicit-def: $vgpr8
                                        ; implicit-def: $vgpr4_vgpr5
	s_and_saveexec_b64 s[2:3], vcc
	s_xor_b64 s[2:3], exec, s[2:3]
	s_cbranch_execz .LBB0_21
; %bb.20:
	v_mov_b32_e32 v35, 0
	v_lshlrev_b64 v[0:1], 3, v[34:35]
	v_mov_b32_e32 v4, s7
	v_add_co_u32_e32 v0, vcc, s6, v0
	v_addc_co_u32_e32 v1, vcc, v4, v1, vcc
	global_load_dwordx2 v[0:1], v[0:1], off
	ds_read_b64 v[4:5], v6 offset:13056
	s_waitcnt lgkmcnt(0)
	v_add_f32_e32 v9, v4, v2
	v_sub_f32_e32 v2, v2, v4
	v_add_f32_e32 v7, v5, v3
	v_sub_f32_e32 v3, v3, v5
	v_mul_f32_e32 v2, 0.5, v2
	v_mul_f32_e32 v4, 0.5, v7
	;; [unrolled: 1-line block ×3, first 2 shown]
	s_waitcnt vmcnt(0)
	v_mul_f32_e32 v5, v1, v2
	v_fma_f32 v8, v4, v1, v3
	v_fma_f32 v1, v4, v1, -v3
	v_fma_f32 v7, 0.5, v9, v5
	v_fma_f32 v3, v9, 0.5, -v5
	v_fma_f32 v8, -v0, v2, v8
	v_fma_f32 v1, -v0, v2, v1
	v_fmac_f32_e32 v7, v0, v4
	v_fma_f32 v0, -v0, v4, v3
	v_mov_b32_e32 v4, v34
	v_mov_b32_e32 v5, v35
                                        ; implicit-def: $vgpr2_vgpr3
.LBB0_21:
	s_andn2_saveexec_b64 s[2:3], s[2:3]
	s_cbranch_execz .LBB0_23
; %bb.22:
	v_mov_b32_e32 v8, 0
	ds_read_b32 v1, v8 offset:6532
	v_mov_b32_e32 v4, 0
	s_waitcnt lgkmcnt(1)
	v_add_f32_e32 v7, v2, v3
	v_sub_f32_e32 v0, v2, v3
	v_mov_b32_e32 v5, 0
	s_waitcnt lgkmcnt(0)
	v_xor_b32_e32 v1, 0x80000000, v1
	ds_write_b32 v8, v1 offset:6532
	v_mov_b32_e32 v1, 0
.LBB0_23:
	s_or_b64 exec, exec, s[2:3]
	s_waitcnt lgkmcnt(0)
	v_lshlrev_b64 v[2:3], 3, v[4:5]
	v_mov_b32_e32 v4, s7
	v_add_co_u32_e32 v2, vcc, s6, v2
	v_addc_co_u32_e32 v3, vcc, v4, v3, vcc
	global_load_dwordx2 v[4:5], v[2:3], off offset:816
	global_load_dwordx2 v[9:10], v[2:3], off offset:1632
	;; [unrolled: 1-line block ×3, first 2 shown]
	ds_write2_b32 v52, v7, v8 offset1:1
	ds_write_b64 v6, v[0:1] offset:13056
	ds_read_b64 v[0:1], v52 offset:816
	ds_read_b64 v[7:8], v6 offset:12240
	global_load_dwordx2 v[13:14], v[2:3], off offset:3264
	s_movk_i32 s2, 0x1000
	s_waitcnt lgkmcnt(0)
	v_add_f32_e32 v15, v0, v7
	v_sub_f32_e32 v0, v0, v7
	v_add_f32_e32 v16, v1, v8
	v_sub_f32_e32 v1, v1, v8
	v_mul_f32_e32 v0, 0.5, v0
	v_mul_f32_e32 v7, 0.5, v16
	;; [unrolled: 1-line block ×3, first 2 shown]
	s_waitcnt vmcnt(3)
	v_mul_f32_e32 v8, v5, v0
	v_fma_f32 v16, v7, v5, v1
	v_fma_f32 v1, v7, v5, -v1
	v_fma_f32 v5, 0.5, v15, v8
	v_fma_f32 v16, -v4, v0, v16
	v_fma_f32 v8, v15, 0.5, -v8
	v_fmac_f32_e32 v5, v4, v7
	v_fma_f32 v1, -v4, v0, v1
	v_fma_f32 v0, -v4, v7, v8
	ds_write2_b32 v52, v5, v16 offset0:204 offset1:205
	ds_write_b64 v6, v[0:1] offset:12240
	ds_read_b64 v[0:1], v52 offset:1632
	ds_read_b64 v[4:5], v6 offset:11424
	global_load_dwordx2 v[7:8], v[2:3], off offset:4080
	v_add_u32_e32 v15, 0x400, v52
	v_add_co_u32_e32 v2, vcc, s2, v2
	s_waitcnt lgkmcnt(0)
	v_add_f32_e32 v17, v0, v4
	v_sub_f32_e32 v0, v0, v4
	v_add_f32_e32 v18, v1, v5
	v_sub_f32_e32 v1, v1, v5
	v_mul_f32_e32 v0, 0.5, v0
	v_mul_f32_e32 v4, 0.5, v18
	;; [unrolled: 1-line block ×3, first 2 shown]
	s_waitcnt vmcnt(3)
	v_mul_f32_e32 v5, v10, v0
	v_fma_f32 v18, v4, v10, v1
	v_fma_f32 v1, v4, v10, -v1
	v_fma_f32 v10, 0.5, v17, v5
	v_fma_f32 v18, -v9, v0, v18
	v_fma_f32 v5, v17, 0.5, -v5
	v_fmac_f32_e32 v10, v9, v4
	v_fma_f32 v1, -v9, v0, v1
	v_fma_f32 v0, -v9, v4, v5
	ds_write2_b32 v15, v10, v18 offset0:152 offset1:153
	ds_write_b64 v6, v[0:1] offset:11424
	v_addc_co_u32_e32 v3, vcc, 0, v3, vcc
	ds_read_b64 v[0:1], v52 offset:2448
	ds_read_b64 v[4:5], v6 offset:10608
	global_load_dwordx2 v[9:10], v[2:3], off offset:800
	v_add_u32_e32 v16, 0x800, v52
	s_waitcnt lgkmcnt(0)
	v_add_f32_e32 v15, v0, v4
	v_sub_f32_e32 v0, v0, v4
	v_add_f32_e32 v17, v1, v5
	v_sub_f32_e32 v1, v1, v5
	v_mul_f32_e32 v0, 0.5, v0
	v_mul_f32_e32 v4, 0.5, v17
	;; [unrolled: 1-line block ×3, first 2 shown]
	s_waitcnt vmcnt(3)
	v_mul_f32_e32 v5, v12, v0
	v_fma_f32 v17, v4, v12, v1
	v_fma_f32 v1, v4, v12, -v1
	v_fma_f32 v12, 0.5, v15, v5
	v_fma_f32 v17, -v11, v0, v17
	v_fma_f32 v5, v15, 0.5, -v5
	v_fmac_f32_e32 v12, v11, v4
	v_fma_f32 v1, -v11, v0, v1
	v_fma_f32 v0, -v11, v4, v5
	ds_write2_b32 v16, v12, v17 offset0:100 offset1:101
	ds_write_b64 v6, v[0:1] offset:10608
	ds_read_b64 v[0:1], v52 offset:3264
	ds_read_b64 v[4:5], v6 offset:9792
	global_load_dwordx2 v[2:3], v[2:3], off offset:1616
	v_add_u32_e32 v11, 0xc00, v52
	s_waitcnt lgkmcnt(0)
	v_add_f32_e32 v12, v0, v4
	v_sub_f32_e32 v0, v0, v4
	v_add_f32_e32 v15, v1, v5
	v_sub_f32_e32 v1, v1, v5
	v_mul_f32_e32 v0, 0.5, v0
	v_mul_f32_e32 v4, 0.5, v15
	;; [unrolled: 1-line block ×3, first 2 shown]
	s_waitcnt vmcnt(3)
	v_mul_f32_e32 v5, v14, v0
	v_fma_f32 v15, v4, v14, v1
	v_fma_f32 v1, v4, v14, -v1
	v_fma_f32 v14, 0.5, v12, v5
	v_fma_f32 v15, -v13, v0, v15
	v_fma_f32 v5, v12, 0.5, -v5
	v_fmac_f32_e32 v14, v13, v4
	v_fma_f32 v1, -v13, v0, v1
	v_fma_f32 v0, -v13, v4, v5
	ds_write2_b32 v11, v14, v15 offset0:48 offset1:49
	ds_write_b64 v6, v[0:1] offset:9792
	ds_read_b64 v[0:1], v52 offset:4080
	ds_read_b64 v[4:5], v6 offset:8976
	s_waitcnt lgkmcnt(0)
	v_add_f32_e32 v12, v0, v4
	v_sub_f32_e32 v0, v0, v4
	v_add_f32_e32 v13, v1, v5
	v_sub_f32_e32 v1, v1, v5
	v_mul_f32_e32 v0, 0.5, v0
	v_mul_f32_e32 v4, 0.5, v13
	v_mul_f32_e32 v1, 0.5, v1
	s_waitcnt vmcnt(2)
	v_mul_f32_e32 v5, v8, v0
	v_fma_f32 v13, v4, v8, v1
	v_fma_f32 v1, v4, v8, -v1
	v_fma_f32 v8, 0.5, v12, v5
	v_fma_f32 v13, -v7, v0, v13
	v_fma_f32 v5, v12, 0.5, -v5
	v_fmac_f32_e32 v8, v7, v4
	v_fma_f32 v1, -v7, v0, v1
	v_fma_f32 v0, -v7, v4, v5
	ds_write2_b32 v11, v8, v13 offset0:252 offset1:253
	ds_write_b64 v6, v[0:1] offset:8976
	ds_read_b64 v[0:1], v52 offset:4896
	ds_read_b64 v[4:5], v6 offset:8160
	s_waitcnt lgkmcnt(0)
	v_add_f32_e32 v7, v0, v4
	v_sub_f32_e32 v0, v0, v4
	v_add_f32_e32 v8, v1, v5
	v_sub_f32_e32 v1, v1, v5
	v_mul_f32_e32 v0, 0.5, v0
	v_mul_f32_e32 v4, 0.5, v8
	;; [unrolled: 1-line block ×3, first 2 shown]
	s_waitcnt vmcnt(1)
	v_mul_f32_e32 v5, v10, v0
	v_fma_f32 v8, v4, v10, v1
	v_fma_f32 v1, v4, v10, -v1
	v_fma_f32 v10, 0.5, v7, v5
	v_fma_f32 v5, v7, 0.5, -v5
	v_fma_f32 v8, -v9, v0, v8
	v_fma_f32 v1, -v9, v0, v1
	v_fmac_f32_e32 v10, v9, v4
	v_fma_f32 v0, -v9, v4, v5
	v_add_u32_e32 v4, 0x1000, v52
	ds_write2_b32 v4, v10, v8 offset0:200 offset1:201
	ds_write_b64 v6, v[0:1] offset:8160
	ds_read_b64 v[0:1], v52 offset:5712
	ds_read_b64 v[4:5], v6 offset:7344
	s_waitcnt lgkmcnt(0)
	v_add_f32_e32 v7, v0, v4
	v_sub_f32_e32 v0, v0, v4
	v_add_f32_e32 v8, v1, v5
	v_sub_f32_e32 v1, v1, v5
	v_mul_f32_e32 v4, 0.5, v0
	v_mul_f32_e32 v8, 0.5, v8
	;; [unrolled: 1-line block ×3, first 2 shown]
	s_waitcnt vmcnt(0)
	v_mul_f32_e32 v0, v3, v4
	v_fma_f32 v5, 0.5, v7, v0
	v_fma_f32 v9, v8, v3, v1
	v_fma_f32 v0, v7, 0.5, -v0
	v_fma_f32 v1, v8, v3, -v1
	v_fmac_f32_e32 v5, v2, v8
	v_fma_f32 v9, -v2, v4, v9
	v_fma_f32 v0, -v2, v8, v0
	;; [unrolled: 1-line block ×3, first 2 shown]
	v_add_u32_e32 v2, 0x1400, v52
	ds_write2_b32 v2, v5, v9 offset0:148 offset1:149
	ds_write_b64 v6, v[0:1] offset:7344
	s_waitcnt lgkmcnt(0)
	s_barrier
	s_and_saveexec_b64 s[2:3], s[0:1]
	s_cbranch_execz .LBB0_26
; %bb.24:
	v_mul_lo_u32 v2, s5, v36
	v_mul_lo_u32 v3, s4, v37
	v_mad_u64_u32 v[0:1], s[0:1], s4, v36, 0
	v_mov_b32_e32 v6, s11
	v_lshl_add_u32 v8, v34, 3, 0
	v_add3_u32 v1, v1, v3, v2
	v_lshlrev_b64 v[0:1], 3, v[0:1]
	v_mov_b32_e32 v35, 0
	v_add_co_u32_e32 v0, vcc, s10, v0
	v_addc_co_u32_e32 v9, vcc, v6, v1, vcc
	v_lshlrev_b64 v[6:7], 3, v[32:33]
	ds_read2_b64 v[2:5], v8 offset1:102
	v_add_co_u32_e32 v1, vcc, v0, v6
	v_addc_co_u32_e32 v0, vcc, v9, v7, vcc
	v_lshlrev_b64 v[6:7], 3, v[34:35]
	s_movk_i32 s0, 0x65
	v_add_co_u32_e32 v6, vcc, v1, v6
	v_addc_co_u32_e32 v7, vcc, v0, v7, vcc
	s_waitcnt lgkmcnt(0)
	global_store_dwordx2 v[6:7], v[2:3], off
	v_add_u32_e32 v2, 0x66, v34
	v_mov_b32_e32 v3, v35
	v_lshlrev_b64 v[2:3], 3, v[2:3]
	v_add_u32_e32 v6, 0xcc, v34
	v_add_co_u32_e32 v2, vcc, v1, v2
	v_addc_co_u32_e32 v3, vcc, v0, v3, vcc
	global_store_dwordx2 v[2:3], v[4:5], off
	v_add_u32_e32 v2, 0x400, v8
	v_mov_b32_e32 v7, v35
	ds_read2_b64 v[2:5], v2 offset0:76 offset1:178
	v_lshlrev_b64 v[6:7], 3, v[6:7]
	v_add_co_u32_e32 v6, vcc, v1, v6
	v_addc_co_u32_e32 v7, vcc, v0, v7, vcc
	s_waitcnt lgkmcnt(0)
	global_store_dwordx2 v[6:7], v[2:3], off
	v_add_u32_e32 v2, 0x132, v34
	v_mov_b32_e32 v3, v35
	v_lshlrev_b64 v[2:3], 3, v[2:3]
	v_add_u32_e32 v6, 0x198, v34
	v_add_co_u32_e32 v2, vcc, v1, v2
	v_addc_co_u32_e32 v3, vcc, v0, v3, vcc
	global_store_dwordx2 v[2:3], v[4:5], off
	v_add_u32_e32 v2, 0x800, v8
	v_mov_b32_e32 v7, v35
	ds_read2_b64 v[2:5], v2 offset0:152 offset1:254
	v_lshlrev_b64 v[6:7], 3, v[6:7]
	v_add_co_u32_e32 v6, vcc, v1, v6
	v_addc_co_u32_e32 v7, vcc, v0, v7, vcc
	s_waitcnt lgkmcnt(0)
	global_store_dwordx2 v[6:7], v[2:3], off
	v_add_u32_e32 v2, 0x1fe, v34
	v_mov_b32_e32 v3, v35
	v_lshlrev_b64 v[2:3], 3, v[2:3]
	v_add_u32_e32 v6, 0x264, v34
	v_add_co_u32_e32 v2, vcc, v1, v2
	v_addc_co_u32_e32 v3, vcc, v0, v3, vcc
	global_store_dwordx2 v[2:3], v[4:5], off
	v_add_u32_e32 v2, 0x1000, v8
	v_mov_b32_e32 v7, v35
	ds_read2_b64 v[2:5], v2 offset0:100 offset1:202
	v_lshlrev_b64 v[6:7], 3, v[6:7]
	v_add_co_u32_e32 v6, vcc, v1, v6
	v_addc_co_u32_e32 v7, vcc, v0, v7, vcc
	s_waitcnt lgkmcnt(0)
	global_store_dwordx2 v[6:7], v[2:3], off
	v_add_u32_e32 v2, 0x2ca, v34
	v_mov_b32_e32 v3, v35
	v_lshlrev_b64 v[2:3], 3, v[2:3]
	v_add_u32_e32 v6, 0x330, v34
	v_add_co_u32_e32 v2, vcc, v1, v2
	v_addc_co_u32_e32 v3, vcc, v0, v3, vcc
	global_store_dwordx2 v[2:3], v[4:5], off
	v_add_u32_e32 v2, 0x1800, v8
	v_mov_b32_e32 v7, v35
	ds_read2_b64 v[2:5], v2 offset0:48 offset1:150
	v_lshlrev_b64 v[6:7], 3, v[6:7]
	v_add_co_u32_e32 v6, vcc, v1, v6
	v_addc_co_u32_e32 v7, vcc, v0, v7, vcc
	s_waitcnt lgkmcnt(0)
	global_store_dwordx2 v[6:7], v[2:3], off
	v_add_u32_e32 v2, 0x396, v34
	v_mov_b32_e32 v3, v35
	v_lshlrev_b64 v[2:3], 3, v[2:3]
	v_add_u32_e32 v6, 0x3fc, v34
	v_add_co_u32_e32 v2, vcc, v1, v2
	v_addc_co_u32_e32 v3, vcc, v0, v3, vcc
	global_store_dwordx2 v[2:3], v[4:5], off
	v_add_u32_e32 v2, 0x1c00, v8
	v_mov_b32_e32 v7, v35
	ds_read2_b64 v[2:5], v2 offset0:124 offset1:226
	v_lshlrev_b64 v[6:7], 3, v[6:7]
	v_add_co_u32_e32 v6, vcc, v1, v6
	v_addc_co_u32_e32 v7, vcc, v0, v7, vcc
	s_waitcnt lgkmcnt(0)
	global_store_dwordx2 v[6:7], v[2:3], off
	v_add_u32_e32 v2, 0x462, v34
	v_mov_b32_e32 v3, v35
	v_lshlrev_b64 v[2:3], 3, v[2:3]
	v_add_u32_e32 v6, 0x4c8, v34
	v_add_co_u32_e32 v2, vcc, v1, v2
	v_addc_co_u32_e32 v3, vcc, v0, v3, vcc
	global_store_dwordx2 v[2:3], v[4:5], off
	v_add_u32_e32 v2, 0x2400, v8
	v_mov_b32_e32 v7, v35
	ds_read2_b64 v[2:5], v2 offset0:72 offset1:174
	v_lshlrev_b64 v[6:7], 3, v[6:7]
	v_add_co_u32_e32 v6, vcc, v1, v6
	v_addc_co_u32_e32 v7, vcc, v0, v7, vcc
	s_waitcnt lgkmcnt(0)
	global_store_dwordx2 v[6:7], v[2:3], off
	v_add_u32_e32 v2, 0x52e, v34
	v_mov_b32_e32 v3, v35
	v_lshlrev_b64 v[2:3], 3, v[2:3]
	v_add_u32_e32 v6, 0x594, v34
	v_add_co_u32_e32 v2, vcc, v1, v2
	v_addc_co_u32_e32 v3, vcc, v0, v3, vcc
	global_store_dwordx2 v[2:3], v[4:5], off
	v_add_u32_e32 v2, 0x2800, v8
	v_mov_b32_e32 v7, v35
	ds_read2_b64 v[2:5], v2 offset0:148 offset1:250
	v_lshlrev_b64 v[6:7], 3, v[6:7]
	v_add_co_u32_e32 v6, vcc, v1, v6
	v_addc_co_u32_e32 v7, vcc, v0, v7, vcc
	s_waitcnt lgkmcnt(0)
	global_store_dwordx2 v[6:7], v[2:3], off
	v_add_u32_e32 v2, 0x5fa, v34
	v_mov_b32_e32 v3, v35
	v_lshlrev_b64 v[2:3], 3, v[2:3]
	v_add_co_u32_e32 v2, vcc, v1, v2
	v_addc_co_u32_e32 v3, vcc, v0, v3, vcc
	v_cmp_eq_u32_e32 vcc, s0, v34
	global_store_dwordx2 v[2:3], v[4:5], off
	s_and_b64 exec, exec, vcc
	s_cbranch_execz .LBB0_26
; %bb.25:
	ds_read_b64 v[2:3], v35 offset:13056
	v_add_co_u32_e32 v4, vcc, 0x3000, v1
	v_addc_co_u32_e32 v5, vcc, 0, v0, vcc
	s_waitcnt lgkmcnt(0)
	global_store_dwordx2 v[4:5], v[2:3], off offset:768
.LBB0_26:
	s_endpgm
	.section	.rodata,"a",@progbits
	.p2align	6, 0x0
	.amdhsa_kernel fft_rtc_fwd_len1632_factors_17_2_2_3_8_wgs_102_tpt_102_halfLds_sp_op_CI_CI_unitstride_sbrr_R2C_dirReg
		.amdhsa_group_segment_fixed_size 0
		.amdhsa_private_segment_fixed_size 0
		.amdhsa_kernarg_size 104
		.amdhsa_user_sgpr_count 6
		.amdhsa_user_sgpr_private_segment_buffer 1
		.amdhsa_user_sgpr_dispatch_ptr 0
		.amdhsa_user_sgpr_queue_ptr 0
		.amdhsa_user_sgpr_kernarg_segment_ptr 1
		.amdhsa_user_sgpr_dispatch_id 0
		.amdhsa_user_sgpr_flat_scratch_init 0
		.amdhsa_user_sgpr_private_segment_size 0
		.amdhsa_uses_dynamic_stack 0
		.amdhsa_system_sgpr_private_segment_wavefront_offset 0
		.amdhsa_system_sgpr_workgroup_id_x 1
		.amdhsa_system_sgpr_workgroup_id_y 0
		.amdhsa_system_sgpr_workgroup_id_z 0
		.amdhsa_system_sgpr_workgroup_info 0
		.amdhsa_system_vgpr_workitem_id 0
		.amdhsa_next_free_vgpr 206
		.amdhsa_next_free_sgpr 28
		.amdhsa_reserve_vcc 1
		.amdhsa_reserve_flat_scratch 0
		.amdhsa_float_round_mode_32 0
		.amdhsa_float_round_mode_16_64 0
		.amdhsa_float_denorm_mode_32 3
		.amdhsa_float_denorm_mode_16_64 3
		.amdhsa_dx10_clamp 1
		.amdhsa_ieee_mode 1
		.amdhsa_fp16_overflow 0
		.amdhsa_exception_fp_ieee_invalid_op 0
		.amdhsa_exception_fp_denorm_src 0
		.amdhsa_exception_fp_ieee_div_zero 0
		.amdhsa_exception_fp_ieee_overflow 0
		.amdhsa_exception_fp_ieee_underflow 0
		.amdhsa_exception_fp_ieee_inexact 0
		.amdhsa_exception_int_div_zero 0
	.end_amdhsa_kernel
	.text
.Lfunc_end0:
	.size	fft_rtc_fwd_len1632_factors_17_2_2_3_8_wgs_102_tpt_102_halfLds_sp_op_CI_CI_unitstride_sbrr_R2C_dirReg, .Lfunc_end0-fft_rtc_fwd_len1632_factors_17_2_2_3_8_wgs_102_tpt_102_halfLds_sp_op_CI_CI_unitstride_sbrr_R2C_dirReg
                                        ; -- End function
	.section	.AMDGPU.csdata,"",@progbits
; Kernel info:
; codeLenInByte = 13472
; NumSgprs: 32
; NumVgprs: 206
; ScratchSize: 0
; MemoryBound: 0
; FloatMode: 240
; IeeeMode: 1
; LDSByteSize: 0 bytes/workgroup (compile time only)
; SGPRBlocks: 3
; VGPRBlocks: 51
; NumSGPRsForWavesPerEU: 32
; NumVGPRsForWavesPerEU: 206
; Occupancy: 1
; WaveLimiterHint : 1
; COMPUTE_PGM_RSRC2:SCRATCH_EN: 0
; COMPUTE_PGM_RSRC2:USER_SGPR: 6
; COMPUTE_PGM_RSRC2:TRAP_HANDLER: 0
; COMPUTE_PGM_RSRC2:TGID_X_EN: 1
; COMPUTE_PGM_RSRC2:TGID_Y_EN: 0
; COMPUTE_PGM_RSRC2:TGID_Z_EN: 0
; COMPUTE_PGM_RSRC2:TIDIG_COMP_CNT: 0
	.type	__hip_cuid_e86bc900bd07dd61,@object ; @__hip_cuid_e86bc900bd07dd61
	.section	.bss,"aw",@nobits
	.globl	__hip_cuid_e86bc900bd07dd61
__hip_cuid_e86bc900bd07dd61:
	.byte	0                               ; 0x0
	.size	__hip_cuid_e86bc900bd07dd61, 1

	.ident	"AMD clang version 19.0.0git (https://github.com/RadeonOpenCompute/llvm-project roc-6.4.0 25133 c7fe45cf4b819c5991fe208aaa96edf142730f1d)"
	.section	".note.GNU-stack","",@progbits
	.addrsig
	.addrsig_sym __hip_cuid_e86bc900bd07dd61
	.amdgpu_metadata
---
amdhsa.kernels:
  - .args:
      - .actual_access:  read_only
        .address_space:  global
        .offset:         0
        .size:           8
        .value_kind:     global_buffer
      - .offset:         8
        .size:           8
        .value_kind:     by_value
      - .actual_access:  read_only
        .address_space:  global
        .offset:         16
        .size:           8
        .value_kind:     global_buffer
      - .actual_access:  read_only
        .address_space:  global
        .offset:         24
        .size:           8
        .value_kind:     global_buffer
      - .actual_access:  read_only
        .address_space:  global
        .offset:         32
        .size:           8
        .value_kind:     global_buffer
      - .offset:         40
        .size:           8
        .value_kind:     by_value
      - .actual_access:  read_only
        .address_space:  global
        .offset:         48
        .size:           8
        .value_kind:     global_buffer
      - .actual_access:  read_only
        .address_space:  global
        .offset:         56
        .size:           8
        .value_kind:     global_buffer
      - .offset:         64
        .size:           4
        .value_kind:     by_value
      - .actual_access:  read_only
        .address_space:  global
        .offset:         72
        .size:           8
        .value_kind:     global_buffer
      - .actual_access:  read_only
        .address_space:  global
        .offset:         80
        .size:           8
        .value_kind:     global_buffer
      - .actual_access:  read_only
        .address_space:  global
        .offset:         88
        .size:           8
        .value_kind:     global_buffer
      - .actual_access:  write_only
        .address_space:  global
        .offset:         96
        .size:           8
        .value_kind:     global_buffer
    .group_segment_fixed_size: 0
    .kernarg_segment_align: 8
    .kernarg_segment_size: 104
    .language:       OpenCL C
    .language_version:
      - 2
      - 0
    .max_flat_workgroup_size: 102
    .name:           fft_rtc_fwd_len1632_factors_17_2_2_3_8_wgs_102_tpt_102_halfLds_sp_op_CI_CI_unitstride_sbrr_R2C_dirReg
    .private_segment_fixed_size: 0
    .sgpr_count:     32
    .sgpr_spill_count: 0
    .symbol:         fft_rtc_fwd_len1632_factors_17_2_2_3_8_wgs_102_tpt_102_halfLds_sp_op_CI_CI_unitstride_sbrr_R2C_dirReg.kd
    .uniform_work_group_size: 1
    .uses_dynamic_stack: false
    .vgpr_count:     206
    .vgpr_spill_count: 0
    .wavefront_size: 64
amdhsa.target:   amdgcn-amd-amdhsa--gfx906
amdhsa.version:
  - 1
  - 2
...

	.end_amdgpu_metadata
